;; amdgpu-corpus repo=ROCm/rocFFT kind=compiled arch=gfx1201 opt=O3
	.text
	.amdgcn_target "amdgcn-amd-amdhsa--gfx1201"
	.amdhsa_code_object_version 6
	.protected	bluestein_single_fwd_len429_dim1_half_op_CI_CI ; -- Begin function bluestein_single_fwd_len429_dim1_half_op_CI_CI
	.globl	bluestein_single_fwd_len429_dim1_half_op_CI_CI
	.p2align	8
	.type	bluestein_single_fwd_len429_dim1_half_op_CI_CI,@function
bluestein_single_fwd_len429_dim1_half_op_CI_CI: ; @bluestein_single_fwd_len429_dim1_half_op_CI_CI
; %bb.0:
	s_load_b128 s[8:11], s[0:1], 0x28
	v_mul_u32_u24_e32 v1, 0x691, v0
	s_mov_b32 s2, exec_lo
	s_delay_alu instid0(VALU_DEP_1) | instskip(NEXT) | instid1(VALU_DEP_1)
	v_lshrrev_b32_e32 v1, 16, v1
	v_mad_co_u64_u32 v[8:9], null, ttmp9, 3, v[1:2]
	v_mov_b32_e32 v9, 0
                                        ; kill: def $vgpr2 killed $sgpr0 killed $exec
	s_wait_kmcnt 0x0
	s_delay_alu instid0(VALU_DEP_1)
	v_cmpx_gt_u64_e64 s[8:9], v[8:9]
	s_cbranch_execz .LBB0_23
; %bb.1:
	v_mul_hi_u32 v2, 0xaaaaaaab, v8
	s_clause 0x1
	s_load_b64 s[20:21], s[0:1], 0x0
	s_load_b64 s[8:9], s[0:1], 0x38
	v_mul_lo_u16 v1, v1, 39
	s_delay_alu instid0(VALU_DEP_1) | instskip(NEXT) | instid1(VALU_DEP_3)
	v_sub_nc_u16 v0, v0, v1
	v_lshrrev_b32_e32 v2, 1, v2
	s_delay_alu instid0(VALU_DEP_2) | instskip(NEXT) | instid1(VALU_DEP_2)
	v_and_b32_e32 v34, 0xffff, v0
	v_lshl_add_u32 v2, v2, 1, v2
	v_cmp_gt_u16_e32 vcc_lo, 33, v0
	s_delay_alu instid0(VALU_DEP_3) | instskip(NEXT) | instid1(VALU_DEP_3)
	v_lshlrev_b32_e32 v33, 2, v34
	v_sub_nc_u32_e32 v1, v8, v2
	s_delay_alu instid0(VALU_DEP_1) | instskip(NEXT) | instid1(VALU_DEP_1)
	v_mul_u32_u24_e32 v21, 0x1ad, v1
	v_lshlrev_b32_e32 v35, 2, v21
	s_and_saveexec_b32 s3, vcc_lo
	s_cbranch_execz .LBB0_3
; %bb.2:
	s_load_b64 s[4:5], s[0:1], 0x18
	s_wait_kmcnt 0x0
	s_load_b128 s[4:7], s[4:5], 0x0
	s_wait_kmcnt 0x0
	v_mad_co_u64_u32 v[0:1], null, s6, v8, 0
	v_mad_co_u64_u32 v[2:3], null, s4, v34, 0
	s_delay_alu instid0(VALU_DEP_1) | instskip(NEXT) | instid1(VALU_DEP_1)
	v_mad_co_u64_u32 v[4:5], null, s7, v8, v[1:2]
	v_mad_co_u64_u32 v[5:6], null, s5, v34, v[3:4]
	v_mov_b32_e32 v1, v4
	s_mul_u64 s[4:5], s[4:5], 0x84
	s_clause 0xb
	global_load_b32 v6, v33, s[20:21]
	global_load_b32 v7, v33, s[20:21] offset:132
	global_load_b32 v9, v33, s[20:21] offset:264
	;; [unrolled: 1-line block ×11, first 2 shown]
	v_lshlrev_b64_e32 v[0:1], 2, v[0:1]
	v_mov_b32_e32 v3, v5
	s_delay_alu instid0(VALU_DEP_2) | instskip(NEXT) | instid1(VALU_DEP_2)
	v_add_co_u32 v0, s2, s10, v0
	v_lshlrev_b64_e32 v[2:3], 2, v[2:3]
	s_delay_alu instid0(VALU_DEP_4) | instskip(NEXT) | instid1(VALU_DEP_2)
	v_add_co_ci_u32_e64 v1, s2, s11, v1, s2
	v_add_co_u32 v0, s2, v0, v2
	s_wait_alu 0xf1ff
	s_delay_alu instid0(VALU_DEP_2) | instskip(SKIP_1) | instid1(VALU_DEP_2)
	v_add_co_ci_u32_e64 v1, s2, v1, v3, s2
	s_wait_alu 0xfffe
	v_add_co_u32 v2, s2, v0, s4
	s_wait_alu 0xf1ff
	s_delay_alu instid0(VALU_DEP_2)
	v_add_co_ci_u32_e64 v3, s2, s5, v1, s2
	global_load_b32 v19, v[0:1], off
	v_add_co_u32 v0, s2, v2, s4
	s_wait_alu 0xf1ff
	v_add_co_ci_u32_e64 v1, s2, s5, v3, s2
	global_load_b32 v20, v[2:3], off
	global_load_b32 v22, v33, s[20:21] offset:1584
	global_load_b32 v23, v[0:1], off
	v_add_co_u32 v0, s2, v0, s4
	s_wait_alu 0xf1ff
	v_add_co_ci_u32_e64 v1, s2, s5, v1, s2
	s_delay_alu instid0(VALU_DEP_2) | instskip(SKIP_1) | instid1(VALU_DEP_2)
	v_add_co_u32 v2, s2, v0, s4
	s_wait_alu 0xf1ff
	v_add_co_ci_u32_e64 v3, s2, s5, v1, s2
	global_load_b32 v24, v[0:1], off
	v_add_co_u32 v0, s2, v2, s4
	s_wait_alu 0xf1ff
	v_add_co_ci_u32_e64 v1, s2, s5, v3, s2
	global_load_b32 v25, v[2:3], off
	global_load_b32 v26, v[0:1], off
	v_add_co_u32 v0, s2, v0, s4
	s_wait_alu 0xf1ff
	v_add_co_ci_u32_e64 v1, s2, s5, v1, s2
	s_delay_alu instid0(VALU_DEP_2) | instskip(SKIP_1) | instid1(VALU_DEP_2)
	v_add_co_u32 v2, s2, v0, s4
	s_wait_alu 0xf1ff
	v_add_co_ci_u32_e64 v3, s2, s5, v1, s2
	global_load_b32 v27, v[0:1], off
	v_add_co_u32 v0, s2, v2, s4
	s_wait_alu 0xf1ff
	v_add_co_ci_u32_e64 v1, s2, s5, v3, s2
	global_load_b32 v28, v[2:3], off
	v_add_co_u32 v2, s2, v0, s4
	s_wait_alu 0xf1ff
	v_add_co_ci_u32_e64 v3, s2, s5, v1, s2
	global_load_b32 v29, v[0:1], off
	v_add_co_u32 v0, s2, v2, s4
	s_wait_alu 0xf1ff
	v_add_co_ci_u32_e64 v1, s2, s5, v3, s2
	global_load_b32 v30, v[2:3], off
	v_add_co_u32 v2, s2, v0, s4
	s_wait_alu 0xf1ff
	v_add_co_ci_u32_e64 v3, s2, s5, v1, s2
	s_delay_alu instid0(VALU_DEP_2) | instskip(SKIP_1) | instid1(VALU_DEP_2)
	v_add_co_u32 v4, s2, v2, s4
	s_wait_alu 0xf1ff
	v_add_co_ci_u32_e64 v5, s2, s5, v3, s2
	global_load_b32 v0, v[0:1], off
	global_load_b32 v1, v[2:3], off
	;; [unrolled: 1-line block ×3, first 2 shown]
	v_lshl_add_u32 v4, v34, 2, v35
	v_add_nc_u32_e32 v3, v35, v33
	s_delay_alu instid0(VALU_DEP_1)
	v_add_nc_u32_e32 v5, 0x200, v3
	s_wait_loadcnt 0x19
	v_lshrrev_b32_e32 v31, 16, v6
	s_wait_loadcnt 0x18
	v_lshrrev_b32_e32 v32, 16, v7
	;; [unrolled: 2-line block ×13, first 2 shown]
	v_mul_f16_e32 v46, v31, v19
	s_wait_loadcnt 0xc
	v_lshrrev_b32_e32 v48, 16, v20
	s_delay_alu instid0(VALU_DEP_3) | instskip(NEXT) | instid1(VALU_DEP_3)
	v_mul_f16_e32 v31, v31, v43
	v_fma_f16 v43, v6, v43, -v46
	v_mul_f16_e32 v46, v32, v20
	s_wait_loadcnt 0xb
	v_lshrrev_b32_e32 v49, 16, v22
	v_fmac_f16_e32 v31, v6, v19
	v_mul_f16_e32 v6, v32, v48
	s_wait_loadcnt 0xa
	v_lshrrev_b32_e32 v19, 16, v23
	v_mul_f16_e32 v32, v36, v23
	v_fma_f16 v46, v7, v48, -v46
	v_pack_b32_f16 v31, v31, v43
	v_fmac_f16_e32 v6, v7, v20
	v_mul_f16_e32 v7, v36, v19
	s_wait_loadcnt 0x9
	v_lshrrev_b32_e32 v20, 16, v24
	v_fma_f16 v19, v9, v19, -v32
	v_mul_f16_e32 v32, v37, v24
	ds_store_b32 v4, v31
	v_pack_b32_f16 v4, v6, v46
	v_fmac_f16_e32 v7, v9, v23
	v_mul_f16_e32 v6, v37, v20
	s_wait_loadcnt 0x8
	v_lshrrev_b32_e32 v9, 16, v25
	v_mul_f16_e32 v23, v38, v25
	v_fma_f16 v20, v10, v20, -v32
	v_pack_b32_f16 v7, v7, v19
	v_fmac_f16_e32 v6, v10, v24
	v_mul_f16_e32 v10, v38, v9
	s_wait_loadcnt 0x7
	v_lshrrev_b32_e32 v19, 16, v26
	v_fma_f16 v9, v11, v9, -v23
	v_mul_f16_e32 v23, v39, v26
	ds_store_2addr_b32 v3, v4, v7 offset0:33 offset1:66
	v_pack_b32_f16 v4, v6, v20
	v_fmac_f16_e32 v10, v11, v25
	v_mul_f16_e32 v6, v39, v19
	s_wait_loadcnt 0x6
	v_lshrrev_b32_e32 v7, 16, v27
	v_fma_f16 v11, v12, v19, -v23
	v_mul_f16_e32 v19, v40, v27
	v_pack_b32_f16 v9, v10, v9
	v_fmac_f16_e32 v6, v12, v26
	v_mul_f16_e32 v10, v40, v7
	s_wait_loadcnt 0x5
	v_lshrrev_b32_e32 v12, 16, v28
	v_fma_f16 v7, v13, v7, -v19
	v_mul_f16_e32 v19, v41, v28
	;; [unrolled: 7-line block ×3, first 2 shown]
	v_pack_b32_f16 v7, v10, v7
	v_fmac_f16_e32 v11, v14, v28
	v_mul_f16_e32 v10, v42, v13
	s_wait_loadcnt 0x3
	v_lshrrev_b32_e32 v14, 16, v30
	v_mul_f16_e32 v20, v44, v30
	v_fma_f16 v13, v15, v13, -v19
	v_pack_b32_f16 v11, v11, v12
	v_fmac_f16_e32 v10, v15, v29
	v_mul_f16_e32 v12, v44, v14
	s_wait_loadcnt 0x2
	v_lshrrev_b32_e32 v15, 16, v0
	v_fma_f16 v14, v16, v14, -v20
	v_mul_f16_e32 v19, v45, v0
	v_pack_b32_f16 v10, v10, v13
	v_fmac_f16_e32 v12, v16, v30
	s_wait_loadcnt 0x1
	v_lshrrev_b32_e32 v13, 16, v1
	s_wait_loadcnt 0x0
	v_lshrrev_b32_e32 v16, 16, v2
	v_mul_f16_e32 v20, v45, v15
	v_fma_f16 v15, v17, v15, -v19
	v_mul_f16_e32 v19, v47, v1
	v_mul_f16_e32 v23, v47, v13
	;; [unrolled: 1-line block ×4, first 2 shown]
	v_fmac_f16_e32 v20, v17, v0
	v_fma_f16 v0, v18, v13, -v19
	v_fmac_f16_e32 v23, v18, v1
	v_fmac_f16_e32 v24, v22, v2
	v_fma_f16 v1, v22, v16, -v25
	v_pack_b32_f16 v2, v12, v14
	v_pack_b32_f16 v12, v20, v15
	v_add_nc_u32_e32 v13, 0x400, v3
	v_pack_b32_f16 v0, v23, v0
	v_pack_b32_f16 v1, v24, v1
	ds_store_2addr_b32 v3, v4, v9 offset0:99 offset1:132
	ds_store_2addr_b32 v3, v6, v7 offset0:165 offset1:198
	;; [unrolled: 1-line block ×5, first 2 shown]
.LBB0_3:
	s_or_b32 exec_lo, exec_lo, s3
	v_mov_b32_e32 v11, 0
	global_wb scope:SCOPE_SE
	s_wait_dscnt 0x0
	s_wait_kmcnt 0x0
	s_barrier_signal -1
	s_barrier_wait -1
	global_inv scope:SCOPE_SE
                                        ; implicit-def: $vgpr18
                                        ; implicit-def: $vgpr3
                                        ; implicit-def: $vgpr5
                                        ; implicit-def: $vgpr7
                                        ; implicit-def: $vgpr14
                                        ; implicit-def: $vgpr16
	s_and_saveexec_b32 s2, vcc_lo
	s_cbranch_execz .LBB0_5
; %bb.4:
	v_lshl_add_u32 v0, v21, 2, v33
	s_delay_alu instid0(VALU_DEP_1)
	v_add_nc_u32_e32 v1, 0x400, v0
	ds_load_2addr_b32 v[11:12], v0 offset1:33
	ds_load_2addr_b32 v[15:16], v0 offset0:66 offset1:99
	ds_load_2addr_b32 v[13:14], v0 offset0:132 offset1:165
	;; [unrolled: 1-line block ×5, first 2 shown]
	ds_load_b32 v18, v0 offset:1584
.LBB0_5:
	s_wait_alu 0xfffe
	s_or_b32 exec_lo, exec_lo, s2
	s_wait_dscnt 0x0
	v_pk_add_f16 v19, v12, v18 neg_lo:[0,1] neg_hi:[0,1]
	v_pk_add_f16 v17, v18, v12
	v_pk_add_f16 v25, v15, v3 neg_lo:[0,1] neg_hi:[0,1]
	v_lshrrev_b32_e32 v42, 16, v11
	v_pk_add_f16 v27, v16, v2 neg_lo:[0,1] neg_hi:[0,1]
	v_lshrrev_b32_e32 v0, 16, v19
	v_lshrrev_b32_e32 v68, 16, v17
	;; [unrolled: 1-line block ×3, first 2 shown]
	v_mul_f16_e32 v47, 0xba95, v19
	v_pk_mul_f16 v1, 0x3b15388b, v17
	v_mul_f16_e32 v38, 0xb770, v0
	v_mul_f16_e32 v53, 0xbbf1, v19
	;; [unrolled: 1-line block ×3, first 2 shown]
	v_fma_f16 v10, v68, 0x388b, -v47
	v_mul_f16_e32 v50, 0xbbf1, v0
	v_fmamk_f16 v20, v17, 0x3b15, v38
	v_mul_f16_e32 v49, 0xbb7b, v25
	v_pk_fma_f16 v32, 0xba95b770, v19, v1 op_sel:[0,0,1] op_sel_hi:[1,1,0] neg_lo:[0,1,0] neg_hi:[0,1,0]
	v_pk_fma_f16 v36, 0xba95b770, v19, v1 op_sel:[0,0,1] op_sel_hi:[1,1,0]
	v_add_f16_e32 v1, v10, v42
	v_add_f16_e32 v22, v20, v11
	v_pk_add_f16 v20, v3, v15
	v_fmamk_f16 v10, v17, 0x2fb7, v50
	v_fma_f16 v23, v68, 0x2fb7, -v53
	v_mul_f16_e32 v62, 0xb3a8, v25
	v_lshrrev_b32_e32 v30, 16, v27
	v_fmamk_f16 v26, v20, 0x388b, v40
	v_lshrrev_b32_e32 v75, 16, v20
	v_mul_f16_e32 v61, 0xbb7b, v0
	v_add_f16_e32 v0, v10, v11
	v_add_f16_e32 v10, v23, v42
	v_add_f16_e32 v22, v26, v22
	v_fma_f16 v26, v75, 0xb5ac, -v49
	v_fma_f16 v29, v75, 0xbbc4, -v62
	v_mul_f16_e32 v46, 0xbbf1, v30
	v_mul_f16_e32 v64, 0xbb7b, v19
	v_pk_mul_f16 v28, 0x388bb5ac, v20
	v_add_f16_e32 v1, v26, v1
	v_pk_add_f16 v26, v2, v16
	v_mul_f16_e32 v55, 0xb3a8, v9
	v_mul_f16_e32 v70, 0x394e, v9
	v_add_f16_e32 v9, v29, v10
	v_fmamk_f16 v23, v17, 0xb5ac, v61
	v_fmamk_f16 v29, v26, 0x2fb7, v46
	v_fma_f16 v24, v68, 0xb5ac, -v64
	v_pk_fma_f16 v41, 0xbb7bba95, v25, v28 op_sel:[0,0,1] op_sel_hi:[1,1,0] neg_lo:[0,1,0] neg_hi:[0,1,0]
	v_pk_fma_f16 v45, 0xbb7bba95, v25, v28 op_sel:[0,0,1] op_sel_hi:[1,1,0]
	v_fmamk_f16 v28, v20, 0xbbc4, v55
	v_mul_f16_e32 v73, 0x394e, v25
	v_add_f16_e32 v22, v29, v22
	v_pk_add_f16 v29, v13, v5 neg_lo:[0,1] neg_hi:[0,1]
	v_add_f16_e32 v23, v23, v11
	v_add_f16_e32 v24, v24, v42
	v_add_f16_e32 v0, v28, v0
	v_fmamk_f16 v10, v20, 0xb9fd, v70
	v_fma_f16 v28, v75, 0xb9fd, -v73
	v_pk_mul_f16 v31, 0x2fb7bbc4, v26
	v_lshrrev_b32_e32 v82, 16, v26
	v_mul_f16_e32 v57, 0xb3a8, v27
	v_mul_f16_e32 v67, 0x3b7b, v27
	v_lshrrev_b32_e32 v37, 16, v29
	v_add_f16_e32 v10, v10, v23
	v_add_f16_e32 v23, v28, v24
	v_pk_fma_f16 v48, 0xb3a8bbf1, v27, v31 op_sel:[0,0,1] op_sel_hi:[1,1,0] neg_lo:[0,1,0] neg_hi:[0,1,0]
	v_fma_f16 v24, v82, 0xbbc4, -v57
	v_mul_f16_e32 v60, 0x3b7b, v30
	v_pk_fma_f16 v51, 0xb3a8bbf1, v27, v31 op_sel:[0,0,1] op_sel_hi:[1,1,0]
	v_fma_f16 v31, v82, 0xb5ac, -v67
	v_pk_add_f16 v28, v5, v13
	v_mul_f16_e32 v52, 0xbb7b, v37
	v_add_f16_e32 v1, v24, v1
	v_fmamk_f16 v24, v26, 0xb5ac, v60
	v_mul_f16_e32 v78, 0x3770, v30
	v_add_f16_e32 v9, v31, v9
	v_fmamk_f16 v31, v28, 0xb5ac, v52
	;; [unrolled: 3-line block ×3, first 2 shown]
	v_lshrrev_b32_e32 v86, 16, v28
	v_mul_f16_e32 v58, 0x394e, v29
	v_add_f16_e32 v22, v31, v22
	v_pk_add_f16 v31, v14, v4 neg_lo:[0,1] neg_hi:[0,1]
	v_fma_f16 v30, v82, 0x3b15, -v79
	v_pk_mul_f16 v39, 0xb5acb9fd, v28
	v_add_f16_e32 v10, v24, v10
	v_fma_f16 v24, v86, 0xb9fd, -v58
	v_mul_f16_e32 v71, 0x3770, v37
	v_mul_f16_e32 v76, 0x3770, v29
	v_mul_f16_e32 v83, 0xbbf1, v37
	v_lshrrev_b32_e32 v37, 16, v31
	v_add_f16_e32 v23, v30, v23
	v_pk_fma_f16 v54, 0x394ebb7b, v29, v39 op_sel:[0,0,1] op_sel_hi:[1,1,0] neg_lo:[0,1,0] neg_hi:[0,1,0]
	v_pk_fma_f16 v56, 0x394ebb7b, v29, v39 op_sel:[0,0,1] op_sel_hi:[1,1,0]
	v_add_f16_e32 v1, v24, v1
	v_fmamk_f16 v24, v28, 0x3b15, v71
	v_fma_f16 v39, v86, 0x3b15, -v76
	v_mul_f16_e32 v85, 0xbbf1, v29
	v_pk_add_f16 v30, v4, v14
	v_mul_f16_e32 v59, 0xb94e, v37
	v_add_f16_e32 v0, v24, v0
	v_add_f16_e32 v9, v39, v9
	v_fma_f16 v24, v86, 0x2fb7, -v85
	v_lshrrev_b32_e32 v88, 16, v30
	v_fmamk_f16 v39, v30, 0xb9fd, v59
	v_mul_f16_e32 v66, 0x3bf1, v31
	v_mul_f16_e32 v77, 0xba95, v37
	v_fmamk_f16 v43, v28, 0x2fb7, v83
	v_add_f16_e32 v23, v24, v23
	v_add_f16_e32 v22, v39, v22
	v_fma_f16 v24, v88, 0x2fb7, -v66
	v_fmamk_f16 v39, v30, 0x388b, v77
	v_mul_f16_e32 v87, 0x33a8, v37
	v_add_f16_e32 v10, v43, v10
	v_mul_f16_e32 v90, 0x33a8, v31
	v_add_f16_e32 v1, v24, v1
	v_add_f16_e32 v0, v39, v0
	v_lshrrev_b32_e32 v24, 16, v36
	v_fmamk_f16 v39, v30, 0xbbc4, v87
	v_pk_mul_f16 v43, 0xb9fd2fb7, v30
	v_lshrrev_b32_e32 v44, 16, v45
	v_mul_f16_e32 v80, 0xba95, v31
	v_add_f16_e32 v24, v24, v11
	v_add_f16_e32 v10, v39, v10
	v_fma_f16 v39, v88, 0xbbc4, -v90
	v_pk_fma_f16 v63, 0x3bf1b94e, v31, v43 op_sel:[0,0,1] op_sel_hi:[1,1,0] neg_lo:[0,1,0] neg_hi:[0,1,0]
	v_pk_fma_f16 v65, 0x3bf1b94e, v31, v43 op_sel:[0,0,1] op_sel_hi:[1,1,0]
	v_pk_add_f16 v43, v6, v7 neg_lo:[0,1] neg_hi:[0,1]
	v_add_f16_e32 v24, v44, v24
	v_lshrrev_b32_e32 v72, 16, v51
	v_pk_add_f16 v44, v7, v6
	v_add_f16_e32 v94, v39, v23
	v_add_f16_e32 v23, v32, v42
	v_fma_f16 v37, v88, 0x388b, -v80
	v_add_f16_e32 v24, v72, v24
	v_lshrrev_b32_e32 v39, 16, v56
	v_pk_mul_f16 v74, 0xbbc43b15, v44
	v_add_f16_e32 v23, v41, v23
	v_lshrrev_b32_e32 v92, 16, v44
	v_mul_f16_e32 v81, 0x3770, v43
	s_clause 0x1
	s_load_b64 s[4:5], s[0:1], 0x20
	s_load_b64 s[2:3], s[0:1], 0x8
	v_add_f16_e32 v37, v37, v9
	v_lshrrev_b32_e32 v9, 16, v43
	v_add_f16_e32 v24, v39, v24
	v_lshrrev_b32_e32 v39, 16, v65
	v_pk_fma_f16 v72, 0x3770b3a8, v43, v74 op_sel:[0,0,1] op_sel_hi:[1,1,0]
	v_add_f16_e32 v23, v48, v23
	v_fma_f16 v89, v92, 0x3b15, -v81
	v_mul_f16_e32 v69, 0xb3a8, v9
	v_add_f16_e32 v24, v39, v24
	v_lshrrev_b32_e32 v39, 16, v72
	v_mul_f16_e32 v84, 0xb94e, v9
	v_mul_f16_e32 v91, 0x3a95, v9
	v_add_f16_e32 v96, v54, v23
	v_add_f16_e32 v23, v89, v1
	v_mul_f16_e32 v89, 0xb94e, v43
	v_mul_f16_e32 v93, 0x3a95, v43
	v_fmamk_f16 v95, v44, 0xbbc4, v69
	v_pk_fma_f16 v74, 0x3770b3a8, v43, v74 op_sel:[0,0,1] op_sel_hi:[1,1,0] neg_lo:[0,1,0] neg_hi:[0,1,0]
	v_add_f16_e32 v9, v39, v24
	v_fmamk_f16 v1, v44, 0xb9fd, v84
	v_fmamk_f16 v24, v44, 0x388b, v91
	v_add_f16_e32 v39, v63, v96
	v_fma_f16 v96, v92, 0xb9fd, -v89
	v_fma_f16 v97, v92, 0x388b, -v93
	v_add_f16_e32 v1, v1, v0
	v_add_f16_e32 v0, v24, v10
	v_add_f16_e32 v10, v95, v22
	v_add_f16_e32 v39, v74, v39
	v_add_f16_e32 v24, v96, v37
	v_add_f16_e32 v22, v97, v94
	v_mul_lo_u16 v37, v34, 13
	global_wb scope:SCOPE_SE
	s_wait_kmcnt 0x0
	s_barrier_signal -1
	s_barrier_wait -1
	global_inv scope:SCOPE_SE
	s_and_saveexec_b32 s0, vcc_lo
	s_cbranch_execz .LBB0_7
; %bb.6:
	v_alignbit_b32 v94, v11, v11, 16
	v_mul_f16_e32 v95, 0x3b15, v17
	v_mul_f16_e32 v97, 0x2fb7, v17
	;; [unrolled: 1-line block ×4, first 2 shown]
	v_pk_add_f16 v12, v12, v94 op_sel:[0,1] op_sel_hi:[1,0]
	v_sub_f16_e32 v38, v95, v38
	v_sub_f16_e32 v50, v97, v50
	;; [unrolled: 1-line block ×3, first 2 shown]
	v_mul_f16_e32 v96, 0x388b, v68
	v_pk_add_f16 v12, v15, v12
	v_mul_f16_e32 v98, 0x2fb7, v68
	v_mul_f16_e32 v68, 0xb5ac, v68
	;; [unrolled: 1-line block ×3, first 2 shown]
	v_add_f16_e32 v61, v61, v11
	v_pk_add_f16 v12, v16, v12
	v_add_f16_e32 v50, v50, v11
	v_add_f16_e32 v11, v38, v11
	v_sub_f16_e32 v16, v100, v40
	v_mul_f16_e32 v101, 0xb5ac, v75
	v_pk_add_f16 v12, v13, v12
	v_mul_f16_e32 v110, 0xb5ac, v28
	v_add_f16_e32 v64, v64, v68
	v_add_f16_e32 v53, v53, v98
	v_add_f16_e32 v47, v47, v96
	v_add_f16_e32 v11, v16, v11
	v_sub_f16_e32 v13, v105, v46
	v_pk_add_f16 v12, v14, v12
	v_mul_f16_e32 v106, 0xbbc4, v82
	v_mul_f16_e32 v68, 0xb9fd, v30
	v_add_f16_e32 v64, v64, v42
	v_add_f16_e32 v53, v53, v42
	;; [unrolled: 1-line block ×4, first 2 shown]
	v_bfi_b32 v16, 0xffff, v36, v32
	v_add_f16_e32 v11, v13, v11
	v_sub_f16_e32 v13, v110, v52
	v_pk_add_f16 v6, v6, v12
	v_mul_f16_e32 v103, 0xbbc4, v75
	v_mul_f16_e32 v75, 0xb9fd, v75
	;; [unrolled: 1-line block ×3, first 2 shown]
	v_add_f16_e32 v42, v47, v42
	v_add_f16_e32 v47, v57, v106
	v_bfi_b32 v14, 0xffff, v45, v41
	v_add_f16_e32 v11, v13, v11
	v_sub_f16_e32 v13, v68, v59
	v_pk_add_f16 v6, v7, v6
	v_pk_add_f16 v7, v16, v94
	v_pk_mul_f16 v16, 0xbbc4, v17 op_sel_hi:[0,1]
	v_mul_f16_e32 v108, 0xb5ac, v82
	v_mul_f16_e32 v82, 0x3b15, v82
	;; [unrolled: 1-line block ×3, first 2 shown]
	v_add_f16_e32 v73, v73, v75
	v_add_f16_e32 v42, v47, v42
	;; [unrolled: 1-line block ×3, first 2 shown]
	v_bfi_b32 v32, 0xffff, v51, v48
	v_add_f16_e32 v11, v13, v11
	v_pk_add_f16 v4, v4, v6
	v_pk_add_f16 v6, v14, v7
	v_pk_fma_f16 v7, 0xb3a8, v19, v16 op_sel:[0,0,1] op_sel_hi:[0,1,0] neg_lo:[0,1,0] neg_hi:[0,1,0]
	v_pk_mul_f16 v13, 0x3b15, v20 op_sel_hi:[0,1]
	v_add_f16_e32 v64, v73, v64
	v_add_f16_e32 v73, v79, v82
	v_mul_f16_e32 v79, 0x3b15, v92
	v_add_f16_e32 v15, v47, v42
	v_add_f16_e32 v42, v66, v115
	v_bfi_b32 v12, 0xffff, v56, v54
	v_pk_add_f16 v4, v5, v4
	v_pk_add_f16 v5, v32, v6
	;; [unrolled: 1-line block ×3, first 2 shown]
	v_pk_fma_f16 v7, 0x3770, v25, v13 op_sel:[0,0,1] op_sel_hi:[0,1,0] neg_lo:[0,1,0] neg_hi:[0,1,0]
	v_pk_mul_f16 v32, 0xb9fd, v26 op_sel_hi:[0,1]
	v_mul_f16_e32 v99, 0xbbc4, v44
	v_add_f16_e32 v15, v42, v15
	v_add_f16_e32 v38, v81, v79
	v_bfi_b32 v36, 0xffff, v65, v63
	v_pk_add_f16 v2, v2, v4
	v_pk_add_f16 v4, v12, v5
	;; [unrolled: 1-line block ×3, first 2 shown]
	v_pk_fma_f16 v6, 0xb94e, v27, v32 op_sel:[0,0,1] op_sel_hi:[0,1,0] neg_lo:[0,1,0] neg_hi:[0,1,0]
	v_pk_mul_f16 v7, 0x388b, v28 op_sel_hi:[0,1]
	v_add_f16_e32 v15, v38, v15
	v_bfi_b32 v38, 0xffff, v72, v74
	v_sub_f16_e32 v14, v99, v69
	v_pk_add_f16 v2, v3, v2
	v_pk_add_f16 v3, v36, v4
	;; [unrolled: 1-line block ×3, first 2 shown]
	v_pk_fma_f16 v5, 0x3a95, v29, v7 op_sel:[0,0,1] op_sel_hi:[0,1,0] neg_lo:[0,1,0] neg_hi:[0,1,0]
	v_pk_mul_f16 v6, 0xb5ac, v30 op_sel_hi:[0,1]
	v_add_f16_e32 v11, v14, v11
	v_pk_add_f16 v3, v38, v3
	v_pk_mul_f16 v14, 0xb94e, v19 op_sel_hi:[0,1]
	v_pk_add_f16 v4, v5, v4
	v_pk_fma_f16 v5, 0xbb7b, v31, v6 op_sel:[0,0,1] op_sel_hi:[0,1,0] neg_lo:[0,1,0] neg_hi:[0,1,0]
	v_pk_fma_f16 v16, 0xb3a8, v19, v16 op_sel:[0,0,1] op_sel_hi:[0,1,0]
	v_alignbit_b32 v15, v15, v3, 16
	v_pack_b32_f16 v3, v11, v3
	v_pk_mul_f16 v11, 0x3bf1, v25 op_sel_hi:[0,1]
	v_pk_add_f16 v4, v5, v4
	v_pk_fma_f16 v5, 0xb9fd, v17, v14 op_sel:[0,0,1] op_sel_hi:[0,1,0]
	v_pk_add_f16 v16, v16, v94
	v_pk_fma_f16 v13, 0x3770, v25, v13 op_sel:[0,0,1] op_sel_hi:[0,1,0]
	v_pk_fma_f16 v25, 0x2fb7, v20, v11 op_sel:[0,0,1] op_sel_hi:[0,1,0]
	v_pk_mul_f16 v36, 0xba95, v27 op_sel_hi:[0,1]
	s_wait_alu 0xfffe
	v_alignbit_b32 v19, s0, v5, 16
	v_pk_mul_f16 v38, 0x33a8, v29 op_sel_hi:[0,1]
	v_pk_add_f16 v13, v13, v16
	v_pk_fma_f16 v16, 0xb94e, v27, v32 op_sel:[0,0,1] op_sel_hi:[0,1,0]
	v_alignbit_b32 v27, s0, v25, 16
	v_pk_add_f16 v19, v19, v94
	v_pk_fma_f16 v32, 0x388b, v26, v36 op_sel:[0,0,1] op_sel_hi:[0,1,0]
	v_pk_fma_f16 v7, 0x3a95, v29, v7 op_sel:[0,0,1] op_sel_hi:[0,1,0]
	v_pk_add_f16 v13, v16, v13
	v_pk_fma_f16 v14, 0xb9fd, v17, v14 op_sel:[0,0,1] op_sel_hi:[0,1,0] neg_lo:[0,0,1] neg_hi:[0,0,1]
	v_pk_add_f16 v16, v27, v19
	v_alignbit_b32 v19, s0, v32, 16
	v_pk_fma_f16 v27, 0xbbc4, v28, v38 op_sel:[0,0,1] op_sel_hi:[0,1,0]
	v_alignbit_b32 v17, s0, v94, 16
	v_mul_f16_e32 v102, 0xbbc4, v20
	v_mul_f16_e32 v104, 0xb9fd, v20
	v_pk_add_f16 v7, v7, v13
	v_pk_add_f16 v13, v19, v16
	v_alignbit_b32 v16, s0, v27, 16
	v_pk_add_f16 v17, v14, v17
	v_pk_fma_f16 v11, 0x2fb7, v20, v11 op_sel:[0,0,1] op_sel_hi:[0,1,0] neg_lo:[0,0,1] neg_hi:[0,0,1]
	v_mul_f16_e32 v107, 0xb5ac, v26
	v_mul_f16_e32 v109, 0x3b15, v26
	v_sub_f16_e32 v70, v104, v70
	v_add_f16_e32 v62, v62, v103
	v_sub_f16_e32 v55, v102, v55
	v_pk_mul_f16 v19, 0x3770, v31 op_sel_hi:[0,1]
	v_bfi_b32 v5, 0xffff, v5, v14
	v_pk_add_f16 v13, v16, v13
	v_pk_add_f16 v14, v11, v17
	v_pk_fma_f16 v16, 0x388b, v26, v36 op_sel:[0,0,1] op_sel_hi:[0,1,0] neg_lo:[0,0,1] neg_hi:[0,0,1]
	v_mul_f16_e32 v112, 0x3b15, v28
	v_mul_f16_e32 v113, 0x3b15, v86
	v_mul_f16_e32 v114, 0x2fb7, v28
	v_mul_f16_e32 v86, 0x2fb7, v86
	v_add_f16_e32 v61, v70, v61
	v_sub_f16_e32 v70, v109, v78
	v_add_f16_e32 v53, v62, v53
	v_add_f16_e32 v62, v67, v108
	v_add_f16_e32 v50, v55, v50
	v_sub_f16_e32 v55, v107, v60
	v_pk_fma_f16 v17, 0x3b15, v30, v19 op_sel:[0,0,1] op_sel_hi:[0,1,0]
	v_pk_add_f16 v5, v5, v94 op_sel:[0,1] op_sel_hi:[1,0]
	v_bfi_b32 v11, 0xffff, v25, v11
	v_pk_mul_f16 v20, 0xbb7b, v43 op_sel_hi:[0,1]
	v_pk_add_f16 v14, v16, v14
	v_pk_fma_f16 v25, 0xbbc4, v28, v38 op_sel:[0,0,1] op_sel_hi:[0,1,0] neg_lo:[0,0,1] neg_hi:[0,0,1]
	v_mul_f16_e32 v116, 0x388b, v30
	v_mul_f16_e32 v117, 0x388b, v88
	;; [unrolled: 1-line block ×4, first 2 shown]
	v_add_f16_e32 v64, v73, v64
	v_add_f16_e32 v73, v85, v86
	;; [unrolled: 1-line block ×3, first 2 shown]
	v_sub_f16_e32 v70, v114, v83
	v_add_f16_e32 v53, v62, v53
	v_add_f16_e32 v62, v76, v113
	v_add_f16_e32 v50, v55, v50
	v_sub_f16_e32 v55, v112, v71
	v_alignbit_b32 v26, s0, v17, 16
	v_pk_add_f16 v5, v11, v5
	v_bfi_b32 v11, 0xffff, v32, v16
	v_pk_fma_f16 v16, 0xb5ac, v44, v20 op_sel:[0,0,1] op_sel_hi:[0,1,0]
	v_pk_add_f16 v14, v25, v14
	v_pk_fma_f16 v19, 0x3b15, v30, v19 op_sel:[0,0,1] op_sel_hi:[0,1,0] neg_lo:[0,0,1] neg_hi:[0,0,1]
	v_mul_f16_e32 v82, 0xb9fd, v44
	v_mul_f16_e32 v78, 0xb9fd, v92
	;; [unrolled: 1-line block ×3, first 2 shown]
	v_add_f16_e32 v64, v73, v64
	v_add_f16_e32 v73, v90, v88
	v_mul_f16_e32 v83, 0x388b, v44
	v_add_f16_e32 v61, v70, v61
	v_sub_f16_e32 v70, v75, v87
	v_add_f16_e32 v49, v62, v53
	v_add_f16_e32 v53, v80, v117
	;; [unrolled: 1-line block ×3, first 2 shown]
	v_sub_f16_e32 v55, v116, v77
	v_pk_add_f16 v2, v18, v2
	v_pk_mul_f16 v18, 0x2fb7, v44 op_sel_hi:[0,1]
	v_pk_fma_f16 v6, 0xbb7b, v31, v6 op_sel:[0,0,1] op_sel_hi:[0,1,0]
	v_pk_add_f16 v13, v26, v13
	v_pk_add_f16 v5, v11, v5
	v_bfi_b32 v11, 0xffff, v27, v25
	v_alignbit_b32 v25, s0, v16, 16
	v_pk_add_f16 v14, v19, v14
	v_pk_fma_f16 v20, 0xb5ac, v44, v20 op_sel:[0,0,1] op_sel_hi:[0,1,0] neg_lo:[0,0,1] neg_hi:[0,0,1]
	v_add_f16_e32 v64, v73, v64
	v_add_f16_e32 v73, v93, v85
	;; [unrolled: 1-line block ×3, first 2 shown]
	v_sub_f16_e32 v70, v83, v91
	v_add_f16_e32 v49, v53, v49
	v_add_f16_e32 v53, v89, v78
	;; [unrolled: 1-line block ×3, first 2 shown]
	v_sub_f16_e32 v47, v82, v84
	v_and_b32_e32 v12, 0xffff, v37
	v_pk_fma_f16 v29, 0x3bf1, v43, v18 op_sel:[0,0,1] op_sel_hi:[0,1,0] neg_lo:[0,1,0] neg_hi:[0,1,0]
	v_pk_add_f16 v6, v6, v7
	v_pk_add_f16 v5, v11, v5
	;; [unrolled: 1-line block ×4, first 2 shown]
	v_pk_fma_f16 v14, 0x3bf1, v43, v18 op_sel:[0,0,1] op_sel_hi:[0,1,0]
	v_bfi_b32 v7, 0xffff, v17, v19
	v_add_f16_e32 v64, v73, v64
	v_add_f16_e32 v61, v70, v61
	;; [unrolled: 1-line block ×4, first 2 shown]
	v_add_lshl_u32 v12, v21, v12, 2
	v_pk_add_f16 v4, v29, v4
	v_pack_b32_f16 v11, v13, v11
	v_pk_add_f16 v6, v14, v6
	v_pk_add_f16 v5, v7, v5
	v_bfi_b32 v7, 0xffff, v16, v20
	v_pack_b32_f16 v13, v61, v64
	v_pack_b32_f16 v14, v40, v49
	ds_store_2addr_b32 v12, v2, v11 offset1:5
	v_alignbit_b32 v2, v4, v6, 16
	v_alignbit_b32 v4, v6, v4, 16
	v_pk_add_f16 v5, v7, v5
	v_perm_b32 v6, v22, v0, 0x5040100
	v_perm_b32 v7, v23, v9, 0x5040100
	;; [unrolled: 1-line block ×4, first 2 shown]
	ds_store_2addr_b32 v12, v3, v15 offset0:1 offset1:2
	ds_store_2addr_b32 v12, v14, v13 offset0:3 offset1:4
	;; [unrolled: 1-line block ×5, first 2 shown]
	ds_store_b32 v12, v16 offset:48
.LBB0_7:
	s_wait_alu 0xfffe
	s_or_b32 exec_lo, exec_lo, s0
	v_add_lshl_u32 v38, v21, v34, 2
	global_wb scope:SCOPE_SE
	s_wait_dscnt 0x0
	s_barrier_signal -1
	s_barrier_wait -1
	global_inv scope:SCOPE_SE
	v_add_nc_u32_e32 v11, 0x400, v38
	v_cmp_gt_u16_e64 s0, 26, v34
	ds_load_2addr_b32 v[4:5], v38 offset1:39
	ds_load_2addr_b32 v[2:3], v38 offset0:78 offset1:143
	ds_load_2addr_b32 v[6:7], v38 offset0:182 offset1:221
	;; [unrolled: 1-line block ×3, first 2 shown]
	ds_load_b32 v25, v38 offset:1456
	s_and_saveexec_b32 s1, s0
	s_cbranch_execz .LBB0_9
; %bb.8:
	v_add_nc_u32_e32 v0, 0x100, v38
	ds_load_2addr_b32 v[0:1], v0 offset0:53 offset1:196
	ds_load_b32 v9, v38 offset:1612
	s_wait_dscnt 0x1
	v_lshrrev_b32_e32 v22, 16, v0
	v_lshrrev_b32_e32 v24, 16, v1
	s_wait_dscnt 0x0
	v_lshrrev_b32_e32 v23, 16, v9
.LBB0_9:
	s_wait_alu 0xfffe
	s_or_b32 exec_lo, exec_lo, s1
	v_and_b32_e32 v11, 0xff, v34
	v_add_nc_u16 v12, v34, 39
	v_add_nc_u16 v13, v34, 0x4e
	;; [unrolled: 1-line block ×3, first 2 shown]
	s_wait_dscnt 0x3
	v_lshrrev_b32_e32 v53, 16, v3
	v_mul_lo_u16 v11, 0x4f, v11
	v_and_b32_e32 v15, 0xff, v12
	s_wait_dscnt 0x1
	v_lshrrev_b32_e32 v54, 16, v19
	v_and_b32_e32 v16, 0xff, v14
	v_lshrrev_b32_e32 v56, 16, v6
	v_lshrrev_b16 v26, 10, v11
	v_and_b32_e32 v11, 0xff, v13
	v_mul_lo_u16 v15, 0x4f, v15
	v_mul_lo_u16 v16, 0x4f, v16
	v_lshrrev_b32_e32 v57, 16, v20
	v_mul_lo_u16 v17, v26, 13
	v_mul_lo_u16 v11, 0x4f, v11
	v_lshrrev_b16 v27, 10, v15
	v_lshrrev_b16 v29, 10, v16
	v_and_b32_e32 v26, 0xffff, v26
	v_sub_nc_u16 v15, v34, v17
	v_lshrrev_b16 v28, 10, v11
	v_mul_lo_u16 v11, v27, 13
	v_mul_lo_u16 v16, v29, 13
	v_mul_u32_u24_e32 v26, 39, v26
	v_and_b32_e32 v30, 0xff, v15
	v_mul_lo_u16 v15, v28, 13
	v_sub_nc_u16 v11, v12, v11
	v_sub_nc_u16 v14, v14, v16
	v_and_b32_e32 v27, 0xffff, v27
	v_lshlrev_b32_e32 v12, 3, v30
	v_sub_nc_u16 v13, v13, v15
	v_and_b32_e32 v31, 0xff, v11
	v_and_b32_e32 v40, 0xff, v14
	;; [unrolled: 1-line block ×3, first 2 shown]
	global_load_b64 v[17:18], v12, s[2:3]
	v_and_b32_e32 v32, 0xff, v13
	v_lshlrev_b32_e32 v11, 3, v31
	v_lshlrev_b32_e32 v36, 3, v40
	v_add_nc_u32_e32 v26, v26, v30
	v_mul_u32_u24_e32 v27, 39, v27
	v_lshlrev_b32_e32 v12, 3, v32
	v_mul_u32_u24_e32 v28, 39, v28
	v_and_b32_e32 v41, 0xffff, v29
	s_clause 0x2
	global_load_b64 v[15:16], v11, s[2:3]
	global_load_b64 v[13:14], v12, s[2:3]
	global_load_b64 v[11:12], v36, s[2:3]
	v_add_lshl_u32 v42, v21, v26, 2
	v_add_nc_u32_e32 v26, v27, v31
	v_add_nc_u32_e32 v27, v28, v32
	v_lshrrev_b32_e32 v59, 16, v7
	s_wait_dscnt 0x0
	v_lshrrev_b32_e32 v30, 16, v25
	v_lshrrev_b32_e32 v36, 16, v4
	v_add_lshl_u32 v46, v21, v26, 2
	v_add_lshl_u32 v45, v21, v27, 2
	v_lshrrev_b32_e32 v55, 16, v5
	v_lshrrev_b32_e32 v58, 16, v2
	s_load_b128 s[4:7], s[4:5], 0x0
	global_wb scope:SCOPE_SE
	s_wait_loadcnt 0x0
	s_wait_kmcnt 0x0
	s_barrier_signal -1
	s_barrier_wait -1
	global_inv scope:SCOPE_SE
	v_lshrrev_b32_e32 v52, 16, v17
	v_lshrrev_b32_e32 v50, 16, v18
	s_delay_alu instid0(VALU_DEP_2) | instskip(SKIP_1) | instid1(VALU_DEP_3)
	v_mul_f16_e32 v26, v53, v52
	v_mul_f16_e32 v27, v3, v52
	;; [unrolled: 1-line block ×4, first 2 shown]
	v_lshrrev_b32_e32 v51, 16, v15
	v_lshrrev_b32_e32 v49, 16, v16
	;; [unrolled: 1-line block ×6, first 2 shown]
	v_fma_f16 v26, v3, v17, -v26
	v_fmac_f16_e32 v27, v53, v17
	v_fma_f16 v28, v19, v18, -v28
	v_fmac_f16_e32 v29, v54, v18
	v_mul_f16_e32 v31, v56, v51
	v_mul_f16_e32 v32, v6, v51
	;; [unrolled: 1-line block ×12, first 2 shown]
	v_fma_f16 v31, v6, v15, -v31
	v_fmac_f16_e32 v32, v56, v15
	v_fma_f16 v53, v20, v16, -v53
	v_fmac_f16_e32 v54, v57, v16
	;; [unrolled: 2-line block ×4, first 2 shown]
	v_add_f16_e32 v9, v4, v26
	v_add_f16_e32 v20, v26, v28
	v_sub_f16_e32 v23, v27, v29
	v_add_f16_e32 v24, v36, v27
	v_add_f16_e32 v27, v27, v29
	v_fma_f16 v7, v7, v13, -v60
	v_fmac_f16_e32 v61, v59, v13
	v_fma_f16 v25, v25, v14, -v62
	v_fmac_f16_e32 v63, v30, v14
	v_sub_f16_e32 v26, v26, v28
	v_add_f16_e32 v9, v9, v28
	v_fma_f16 v28, -0.5, v20, v4
	v_add_f16_e32 v24, v24, v29
	v_fmac_f16_e32 v36, -0.5, v27
	v_add_f16_e32 v29, v31, v53
	v_sub_f16_e32 v30, v32, v54
	v_add_f16_e32 v56, v55, v32
	v_add_f16_e32 v32, v32, v54
	v_add_f16_e32 v59, v7, v25
	v_sub_f16_e32 v60, v61, v63
	v_add_f16_e32 v62, v58, v61
	v_add_f16_e32 v61, v61, v63
	v_add_f16_e32 v57, v2, v7
	v_sub_f16_e32 v64, v7, v25
	v_add_f16_e32 v7, v6, v1
	v_add_f16_e32 v65, v19, v3
	v_add_f16_e32 v27, v5, v31
	v_sub_f16_e32 v31, v31, v53
	v_fmamk_f16 v66, v23, 0x3aee, v28
	v_fmamk_f16 v67, v26, 0xbaee, v36
	v_fmac_f16_e32 v5, -0.5, v29
	v_fmac_f16_e32 v55, -0.5, v32
	;; [unrolled: 1-line block ×4, first 2 shown]
	v_sub_f16_e32 v4, v19, v3
	v_sub_f16_e32 v20, v6, v1
	v_fmac_f16_e32 v28, 0xbaee, v23
	v_fmac_f16_e32 v36, 0x3aee, v26
	v_fma_f16 v7, -0.5, v7, v0
	v_fma_f16 v23, -0.5, v65, v22
	v_add_f16_e32 v26, v27, v53
	v_add_f16_e32 v27, v56, v54
	v_pack_b32_f16 v24, v9, v24
	v_fmamk_f16 v32, v30, 0x3aee, v5
	v_fmac_f16_e32 v5, 0xbaee, v30
	v_fmamk_f16 v30, v31, 0xbaee, v55
	v_pack_b32_f16 v56, v66, v67
	v_fmac_f16_e32 v55, 0x3aee, v31
	v_add_f16_e32 v25, v57, v25
	v_add_f16_e32 v29, v62, v63
	v_fmamk_f16 v31, v60, 0x3aee, v2
	v_fmamk_f16 v54, v64, 0xbaee, v58
	v_fmac_f16_e32 v2, 0xbaee, v60
	v_fmac_f16_e32 v58, 0x3aee, v64
	v_fmamk_f16 v9, v4, 0xbaee, v7
	v_fmamk_f16 v53, v20, 0x3aee, v23
	v_pack_b32_f16 v28, v28, v36
	v_pack_b32_f16 v26, v26, v27
	ds_store_2addr_b32 v42, v24, v56 offset1:13
	v_pack_b32_f16 v24, v32, v30
	v_pack_b32_f16 v5, v5, v55
	;; [unrolled: 1-line block ×5, first 2 shown]
	ds_store_b32 v42, v28 offset:104
	ds_store_2addr_b32 v46, v26, v24 offset1:13
	ds_store_b32 v46, v5 offset:104
	ds_store_2addr_b32 v45, v25, v27 offset1:13
	ds_store_b32 v45, v2 offset:104
	s_and_saveexec_b32 s1, s0
	s_cbranch_execz .LBB0_11
; %bb.10:
	v_mul_f16_e32 v2, 0x3aee, v20
	v_add_f16_e32 v5, v22, v19
	v_mul_u32_u24_e32 v19, 39, v41
	v_add_f16_e32 v0, v0, v6
	v_mul_f16_e32 v4, 0x3aee, v4
	v_sub_f16_e32 v2, v23, v2
	v_add_f16_e32 v3, v5, v3
	v_add_nc_u32_e32 v5, v19, v40
	v_add_f16_e32 v0, v0, v1
	v_add_f16_e32 v1, v4, v7
	s_delay_alu instid0(VALU_DEP_3) | instskip(NEXT) | instid1(VALU_DEP_3)
	v_add_lshl_u32 v4, v21, v5, 2
	v_pack_b32_f16 v0, v0, v3
	s_delay_alu instid0(VALU_DEP_3)
	v_pack_b32_f16 v1, v1, v2
	v_perm_b32 v2, v53, v9, 0x5040100
	ds_store_2addr_b32 v4, v0, v1 offset1:13
	ds_store_b32 v4, v2 offset:104
.LBB0_11:
	s_wait_alu 0xfffe
	s_or_b32 exec_lo, exec_lo, s1
	v_mad_co_u64_u32 v[19:20], null, v34, 40, s[2:3]
	global_wb scope:SCOPE_SE
	s_wait_dscnt 0x0
	s_barrier_signal -1
	s_barrier_wait -1
	global_inv scope:SCOPE_SE
	v_add_nc_u32_e32 v23, 0x400, v38
	v_lshl_add_u32 v36, v34, 2, v35
	s_clause 0x2
	global_load_b128 v[4:7], v[19:20], off offset:104
	global_load_b128 v[0:3], v[19:20], off offset:120
	global_load_b64 v[19:20], v[19:20], off offset:136
	ds_load_2addr_b32 v[21:22], v38 offset1:39
	ds_load_b32 v31, v38 offset:312
	ds_load_2addr_b32 v[29:30], v38 offset0:117 offset1:156
	ds_load_2addr_b32 v[27:28], v38 offset0:195 offset1:234
	;; [unrolled: 1-line block ×4, first 2 shown]
	v_add_nc_u32_e32 v32, 0x400, v36
	s_wait_dscnt 0x3
	v_lshrrev_b32_e32 v67, 16, v29
	v_lshrrev_b32_e32 v65, 16, v22
	;; [unrolled: 1-line block ×3, first 2 shown]
	s_wait_dscnt 0x0
	v_lshrrev_b32_e32 v73, 16, v23
	v_lshrrev_b32_e32 v74, 16, v24
	;; [unrolled: 1-line block ×8, first 2 shown]
	s_wait_loadcnt 0x2
	v_lshrrev_b32_e32 v62, 16, v4
	v_lshrrev_b32_e32 v63, 16, v5
	s_wait_loadcnt 0x0
	v_lshrrev_b32_e32 v54, 16, v19
	v_lshrrev_b32_e32 v55, 16, v20
	;; [unrolled: 1-line block ×3, first 2 shown]
	v_mul_f16_e32 v75, v65, v62
	v_mul_f16_e32 v76, v22, v62
	v_lshrrev_b32_e32 v60, 16, v7
	v_lshrrev_b32_e32 v59, 16, v0
	;; [unrolled: 1-line block ×5, first 2 shown]
	v_mul_f16_e32 v77, v66, v63
	v_mul_f16_e32 v78, v31, v63
	;; [unrolled: 1-line block ×5, first 2 shown]
	v_fma_f16 v22, v22, v4, -v75
	v_fmac_f16_e32 v76, v65, v4
	v_mul_f16_e32 v79, v67, v61
	v_mul_f16_e32 v80, v29, v61
	;; [unrolled: 1-line block ×13, first 2 shown]
	v_fma_f16 v31, v31, v5, -v77
	v_fmac_f16_e32 v78, v66, v5
	v_fma_f16 v65, v23, v19, -v91
	v_fma_f16 v77, v24, v20, -v93
	v_fmac_f16_e32 v94, v74, v20
	v_add_f16_e32 v23, v21, v22
	v_add_f16_e32 v24, v64, v76
	v_fma_f16 v29, v29, v6, -v79
	v_fmac_f16_e32 v80, v67, v6
	v_fma_f16 v30, v30, v7, -v81
	v_fmac_f16_e32 v82, v68, v7
	;; [unrolled: 2-line block ×6, first 2 shown]
	v_fmac_f16_e32 v92, v73, v19
	v_add_f16_e32 v66, v22, v77
	v_sub_f16_e32 v22, v22, v77
	v_sub_f16_e32 v68, v76, v94
	v_add_f16_e32 v23, v23, v31
	v_add_f16_e32 v24, v24, v78
	;; [unrolled: 1-line block ×5, first 2 shown]
	v_sub_f16_e32 v71, v31, v65
	v_sub_f16_e32 v72, v78, v92
	;; [unrolled: 1-line block ×8, first 2 shown]
	v_mul_f16_e32 v31, 0xb853, v68
	v_mul_f16_e32 v78, 0xb853, v22
	;; [unrolled: 1-line block ×10, first 2 shown]
	v_add_f16_e32 v23, v23, v29
	v_add_f16_e32 v24, v24, v80
	;; [unrolled: 1-line block ×8, first 2 shown]
	v_mul_f16_e32 v101, 0xbb47, v72
	v_mul_f16_e32 v102, 0xbb47, v71
	;; [unrolled: 1-line block ×33, first 2 shown]
	v_mul_f16_e64 v128, 0x3b47, v87
	v_mul_f16_e32 v87, 0xbbeb, v87
	v_mul_f16_e64 v129, 0xb482, v91
	v_mul_f16_e64 v130, 0x3853, v91
	;; [unrolled: 1-line block ×4, first 2 shown]
	v_mul_f16_e32 v91, 0xbbeb, v91
	v_fma_f16 v29, v66, 0x3abb, -v31
	v_fmamk_f16 v80, v67, 0x3abb, v78
	v_fmac_f16_e32 v31, 0x3abb, v66
	v_fma_f16 v78, v67, 0x3abb, -v78
	v_fma_f16 v133, v66, 0x36a6, -v95
	v_fma_f16 v134, 0x36a6, v67, v96
	v_fmac_f16_e32 v95, 0x36a6, v66
	v_fma_f16 v96, v67, 0x36a6, -v96
	v_fma_f16 v135, v66, 0xb08e, -v97
	v_fma_f16 v136, 0xb08e, v67, v98
	;; [unrolled: 4-line block ×4, first 2 shown]
	v_fmac_f16_e32 v68, 0xbbad, v66
	v_add_f16_e32 v23, v23, v30
	v_add_f16_e32 v24, v24, v82
	v_fma_f16 v22, v67, 0xbbad, -v22
	v_fma_f16 v66, v69, 0x36a6, -v101
	v_fmamk_f16 v67, v70, 0x36a6, v102
	v_fmac_f16_e32 v101, 0x36a6, v69
	v_fma_f16 v102, v70, 0x36a6, -v102
	v_fma_f16 v141, v69, 0xb93d, -v103
	v_fma_f16 v142, 0xb93d, v70, v104
	v_fmac_f16_e32 v103, 0xb93d, v69
	v_fma_f16 v104, v70, 0xb93d, -v104
	v_fma_f16 v143, v69, 0xbbad, -v105
	v_fma_f16 v144, 0xbbad, v70, v106
	;; [unrolled: 4-line block ×4, first 2 shown]
	v_fmac_f16_e32 v72, 0x3abb, v69
	v_fma_f16 v69, v70, 0x3abb, -v71
	v_fma_f16 v70, v73, 0xb08e, -v109
	v_fmamk_f16 v71, v74, 0xb08e, v110
	v_fmac_f16_e32 v109, 0xb08e, v73
	v_fma_f16 v110, v74, 0xb08e, -v110
	v_fma_f16 v149, v73, 0xbbad, -v111
	v_fma_f16 v150, 0xbbad, v74, v112
	v_fmac_f16_e32 v111, 0xbbad, v73
	v_fma_f16 v112, v74, 0xbbad, -v112
	v_fma_f16 v151, v73, 0x36a6, -v113
	v_fma_f16 v152, 0x36a6, v74, v114
	v_fmac_f16_e32 v113, 0x36a6, v73
	v_fma_f16 v114, v74, 0x36a6, -v114
	v_fma_f16 v153, v73, 0x3abb, -v115
	v_fma_f16 v154, 0x3abb, v74, v116
	v_fmac_f16_e32 v115, 0x3abb, v73
	v_fma_f16 v116, v74, 0x3abb, -v116
	v_fma_f16 v155, v73, 0xb93d, -v76
	v_fma_f16 v156, 0xb93d, v74, v75
	v_fmac_f16_e32 v76, 0xb93d, v73
	v_fma_f16 v73, v74, 0xb93d, -v75
	v_fma_f16 v74, v79, 0xb93d, -v117
	v_fmac_f16_e32 v117, 0xb93d, v79
	v_fma_f16 v75, v79, 0xb08e, -v119
	v_fmac_f16_e32 v119, 0xb08e, v79
	;; [unrolled: 2-line block ×5, first 2 shown]
	v_fmamk_f16 v79, v81, 0xb93d, v118
	v_fma_f16 v118, v81, 0xb93d, -v118
	v_fma_f16 v160, 0xb08e, v81, v120
	v_fma_f16 v120, v81, 0xb08e, -v120
	v_fma_f16 v161, 0x3abb, v81, v122
	;; [unrolled: 2-line block ×4, first 2 shown]
	v_fma_f16 v81, v81, 0x36a6, -v83
	v_fma_f16 v83, v89, 0xbbad, -v125
	v_fmac_f16_e32 v125, 0xbbad, v89
	v_fma_f16 v164, v89, 0x3abb, -v126
	v_fmac_f16_e32 v126, 0x3abb, v89
	;; [unrolled: 2-line block ×3, first 2 shown]
	v_fma_f16 v166, v89, 0x36a6, -v128
	v_fmac_f16_e64 v128, 0x36a6, v89
	v_fma_f16 v167, v89, 0xb08e, -v87
	v_fmac_f16_e32 v87, 0xb08e, v89
	v_fma_f16 v89, 0xbbad, v93, v129
	v_fma_f16 v129, v93, 0xbbad, -v129
	v_fma_f16 v168, 0x3abb, v93, v130
	v_fma_f16 v130, v93, 0x3abb, -v130
	;; [unrolled: 2-line block ×5, first 2 shown]
	v_add_f16_e32 v29, v21, v29
	v_add_f16_e32 v31, v21, v31
	v_add_f16_e64 v93, v21, v133
	v_add_f16_e32 v95, v21, v95
	v_add_f16_e64 v133, v21, v135
	;; [unrolled: 2-line block ×4, first 2 shown]
	v_add_f16_e32 v21, v21, v68
	v_add_f16_e32 v30, v64, v80
	v_add_f16_e32 v68, v64, v78
	v_add_f16_e64 v78, v64, v134
	v_add_f16_e32 v80, v64, v96
	v_add_f16_e64 v82, v64, v136
	v_add_f16_e32 v96, v64, v98
	;; [unrolled: 2-line block ×4, first 2 shown]
	v_add_f16_e32 v24, v24, v84
	v_add_f16_e32 v22, v64, v22
	;; [unrolled: 1-line block ×6, first 2 shown]
	v_add_f16_e64 v64, v141, v93
	v_add_f16_e64 v66, v142, v78
	v_add_f16_e32 v67, v103, v95
	v_add_f16_e32 v68, v104, v80
	v_add_f16_e64 v78, v143, v133
	v_add_f16_e64 v80, v144, v82
	v_add_f16_e32 v82, v105, v97
	v_add_f16_e32 v84, v106, v96
	v_add_f16_e64 v95, v146, v98
	v_add_f16_e32 v96, v107, v99
	v_add_f16_e32 v97, v108, v100
	v_add_f16_e64 v98, v147, v137
	v_add_f16_e64 v99, v148, v134
	v_add_f16_e32 v21, v72, v21
	v_add_f16_e32 v23, v23, v28
	;; [unrolled: 1-line block ×8, first 2 shown]
	v_add_f16_e64 v31, v149, v64
	v_add_f16_e64 v64, v150, v66
	v_add_f16_e32 v66, v111, v67
	v_add_f16_e32 v67, v112, v68
	v_add_f16_e64 v68, v151, v78
	v_add_f16_e64 v69, v152, v80
	v_add_f16_e32 v70, v113, v82
	v_add_f16_e32 v71, v114, v84
	v_add_f16_e64 v78, v154, v95
	v_add_f16_e32 v80, v115, v96
	v_add_f16_e32 v82, v116, v97
	v_add_f16_e64 v84, v155, v98
	v_add_f16_e64 v86, v156, v99
	v_add_f16_e32 v21, v76, v21
	v_add_f16_e32 v23, v23, v25
	;; [unrolled: 1-line block ×3, first 2 shown]
	v_add_f16_e64 v93, v145, v135
	v_add_f16_e32 v25, v74, v27
	v_add_f16_e32 v27, v79, v28
	;; [unrolled: 1-line block ×5, first 2 shown]
	v_add_f16_e64 v31, v160, v64
	v_add_f16_e64 v76, v162, v78
	v_add_f16_e32 v78, v123, v80
	v_add_f16_e32 v79, v124, v82
	v_add_f16_e64 v80, v159, v84
	v_add_f16_e64 v82, v163, v86
	v_add_f16_e32 v84, v85, v21
	v_add_f16_e32 v85, v23, v26
	;; [unrolled: 1-line block ×3, first 2 shown]
	v_add_f16_e64 v72, v153, v93
	v_add_f16_e32 v22, v73, v22
	v_add_f16_e32 v64, v119, v66
	v_add_f16_e64 v74, v168, v31
	v_add_f16_e32 v31, v85, v65
	v_add_f16_e32 v65, v86, v92
	v_add_f16_e64 v68, v157, v68
	v_add_f16_e64 v69, v161, v69
	;; [unrolled: 1-line block ×3, first 2 shown]
	v_add_f16_e32 v70, v121, v70
	v_add_f16_e32 v71, v122, v71
	;; [unrolled: 1-line block ×9, first 2 shown]
	v_add_f16_e64 v24, v164, v30
	v_add_f16_e32 v22, v125, v28
	v_add_f16_e64 v27, v165, v68
	v_add_f16_e64 v73, v169, v69
	;; [unrolled: 1-line block ×5, first 2 shown]
	v_add_f16_e32 v26, v127, v70
	v_add_f16_e64 v68, v131, v71
	v_add_f16_e64 v29, v167, v80
	;; [unrolled: 1-line block ×3, first 2 shown]
	v_add_f16_e32 v30, v87, v84
	v_add_f16_e32 v70, v91, v81
	v_add_f16_e64 v25, v128, v78
	v_add_f16_e64 v69, v132, v79
	v_add_f16_e64 v67, v130, v67
	v_pack_b32_f16 v81, v64, v65
	v_pack_b32_f16 v76, v23, v75
	;; [unrolled: 1-line block ×11, first 2 shown]
	ds_store_b32 v36, v81
	ds_store_2addr_b32 v36, v76, v78 offset0:39 offset1:78
	ds_store_2addr_b32 v36, v31, v77 offset0:117 offset1:156
	ds_store_2addr_b32 v36, v79, v80 offset0:195 offset1:234
	ds_store_2addr_b32 v32, v82, v83 offset0:17 offset1:56
	ds_store_2addr_b32 v32, v84, v85 offset0:95 offset1:134
	global_wb scope:SCOPE_SE
	s_wait_dscnt 0x0
	s_barrier_signal -1
	s_barrier_wait -1
	global_inv scope:SCOPE_SE
	s_and_saveexec_b32 s1, vcc_lo
	s_cbranch_execz .LBB0_13
; %bb.12:
	global_load_b32 v31, v33, s[20:21] offset:1716
	s_add_nc_u64 s[2:3], s[20:21], 0x6b4
	s_clause 0xb
	global_load_b32 v88, v33, s[2:3] offset:132
	global_load_b32 v89, v33, s[2:3] offset:264
	;; [unrolled: 1-line block ×12, first 2 shown]
	ds_load_b32 v76, v36
	s_wait_dscnt 0x0
	v_lshrrev_b32_e32 v77, 16, v76
	s_wait_loadcnt 0xb
	v_lshrrev_b32_e32 v100, 16, v88
	s_wait_loadcnt 0xa
	;; [unrolled: 2-line block ×8, first 2 shown]
	v_lshrrev_b32_e32 v107, 16, v95
	v_lshrrev_b32_e32 v78, 16, v31
	s_wait_loadcnt 0x3
	v_lshrrev_b32_e32 v108, 16, v96
	s_wait_loadcnt 0x2
	;; [unrolled: 2-line block ×4, first 2 shown]
	v_lshrrev_b32_e32 v111, 16, v99
	v_mul_f16_e32 v79, v77, v78
	v_mul_f16_e32 v78, v76, v78
	s_delay_alu instid0(VALU_DEP_2) | instskip(NEXT) | instid1(VALU_DEP_2)
	v_fma_f16 v76, v76, v31, -v79
	v_fmac_f16_e32 v78, v77, v31
	s_delay_alu instid0(VALU_DEP_1)
	v_pack_b32_f16 v31, v76, v78
	ds_store_b32 v36, v31
	v_add_nc_u32_e32 v31, 0x200, v36
	ds_load_2addr_b32 v[76:77], v36 offset0:33 offset1:66
	ds_load_2addr_b32 v[78:79], v36 offset0:99 offset1:132
	;; [unrolled: 1-line block ×6, first 2 shown]
	s_wait_dscnt 0x5
	v_lshrrev_b32_e32 v112, 16, v76
	v_lshrrev_b32_e32 v114, 16, v77
	s_wait_dscnt 0x4
	v_lshrrev_b32_e32 v116, 16, v78
	v_lshrrev_b32_e32 v118, 16, v79
	;; [unrolled: 3-line block ×4, first 2 shown]
	v_lshrrev_b32_e32 v128, 16, v84
	v_lshrrev_b32_e32 v130, 16, v85
	v_mul_f16_e32 v113, v76, v100
	v_mul_f16_e32 v115, v77, v101
	s_wait_dscnt 0x0
	v_lshrrev_b32_e32 v132, 16, v86
	v_lshrrev_b32_e32 v134, 16, v87
	v_mul_f16_e32 v100, v112, v100
	v_mul_f16_e32 v101, v114, v101
	v_mul_f16_e32 v117, v78, v102
	v_mul_f16_e32 v119, v79, v103
	v_mul_f16_e32 v102, v116, v102
	v_mul_f16_e32 v103, v118, v103
	v_mul_f16_e32 v121, v80, v104
	v_mul_f16_e32 v123, v81, v105
	v_mul_f16_e32 v104, v120, v104
	v_mul_f16_e32 v105, v122, v105
	v_mul_f16_e32 v125, v82, v106
	v_mul_f16_e32 v127, v83, v107
	v_mul_f16_e32 v106, v124, v106
	v_mul_f16_e32 v107, v126, v107
	v_mul_f16_e64 v129, v84, v108
	v_mul_f16_e64 v131, v85, v109
	;; [unrolled: 1-line block ×6, first 2 shown]
	v_fmac_f16_e32 v113, v112, v88
	v_fmac_f16_e32 v115, v114, v89
	v_mul_f16_e64 v110, v132, v110
	v_mul_f16_e64 v111, v134, v111
	v_fma_f16 v76, v76, v88, -v100
	v_fma_f16 v77, v77, v89, -v101
	v_fmac_f16_e32 v117, v116, v90
	v_fmac_f16_e32 v119, v118, v91
	v_fma_f16 v78, v78, v90, -v102
	v_fma_f16 v79, v79, v91, -v103
	v_fmac_f16_e32 v121, v120, v92
	v_fmac_f16_e32 v123, v122, v93
	;; [unrolled: 4-line block ×3, first 2 shown]
	v_fma_f16 v82, v82, v94, -v106
	v_fma_f16 v83, v83, v95, -v107
	v_fmac_f16_e64 v129, v128, v96
	v_fmac_f16_e64 v131, v130, v97
	v_fma_f16 v84, v84, v96, -v108
	v_fma_f16 v85, v85, v97, -v109
	v_fmac_f16_e64 v133, v132, v98
	v_fmac_f16_e64 v135, v134, v99
	v_fma_f16 v86, v86, v98, -v110
	v_fma_f16 v87, v87, v99, -v111
	v_pack_b32_f16 v76, v76, v113
	v_pack_b32_f16 v77, v77, v115
	;; [unrolled: 1-line block ×12, first 2 shown]
	ds_store_2addr_b32 v36, v76, v77 offset0:33 offset1:66
	ds_store_2addr_b32 v36, v78, v79 offset0:99 offset1:132
	;; [unrolled: 1-line block ×6, first 2 shown]
.LBB0_13:
	s_wait_alu 0xfffe
	s_or_b32 exec_lo, exec_lo, s1
	global_wb scope:SCOPE_SE
	s_wait_dscnt 0x0
	s_barrier_signal -1
	s_barrier_wait -1
	global_inv scope:SCOPE_SE
	s_and_saveexec_b32 s1, vcc_lo
	s_cbranch_execz .LBB0_15
; %bb.14:
	v_add_nc_u32_e32 v9, 0x200, v36
	v_add_nc_u32_e32 v10, 0x400, v36
	ds_load_b32 v64, v36
	ds_load_2addr_b32 v[23:24], v36 offset0:33 offset1:66
	ds_load_2addr_b32 v[27:28], v36 offset0:99 offset1:132
	;; [unrolled: 1-line block ×6, first 2 shown]
	s_wait_dscnt 0x6
	v_lshrrev_b32_e32 v65, 16, v64
	s_wait_dscnt 0x5
	v_lshrrev_b32_e32 v75, 16, v23
	v_lshrrev_b32_e32 v74, 16, v24
	s_wait_dscnt 0x4
	v_lshrrev_b32_e32 v73, 16, v27
	;; [unrolled: 3-line block ×6, first 2 shown]
	v_lshrrev_b32_e32 v39, 16, v10
.LBB0_15:
	s_wait_alu 0xfffe
	s_or_b32 exec_lo, exec_lo, s1
	s_delay_alu instid0(VALU_DEP_1)
	v_sub_f16_e32 v92, v75, v39
	v_add_f16_e32 v95, v39, v75
	v_add_f16_e32 v80, v10, v23
	v_sub_f16_e32 v81, v23, v10
	v_sub_f16_e32 v93, v74, v53
	v_mul_f16_e32 v97, 0xba95, v92
	v_mul_f16_e32 v100, 0x388b, v95
	v_add_f16_e32 v98, v53, v74
	v_mul_f16_e32 v105, 0xbbf1, v92
	v_mul_f16_e32 v110, 0x2fb7, v95
	;; [unrolled: 1-line block ×3, first 2 shown]
	v_fma_f16 v31, v80, 0x388b, -v97
	v_fmamk_f16 v32, v81, 0xba95, v100
	v_add_f16_e32 v82, v9, v24
	v_mul_f16_e32 v101, 0xbb7b, v93
	v_sub_f16_e32 v83, v24, v9
	v_mul_f16_e32 v108, 0xb5ac, v98
	v_mul_f16_e32 v120, 0xb5ac, v95
	v_fma_f16 v76, v80, 0x2fb7, -v105
	v_fmamk_f16 v77, v81, 0xbbf1, v110
	v_add_f16_e32 v31, v64, v31
	v_add_f16_e32 v32, v65, v32
	v_fma_f16 v78, v80, 0xb5ac, -v114
	v_mul_f16_e32 v111, 0xb3a8, v93
	v_fma_f16 v84, v82, 0xb5ac, -v101
	v_mul_f16_e32 v116, 0xbbc4, v98
	v_mul_f16_e32 v122, 0x394e, v93
	v_fmamk_f16 v85, v83, 0xbb7b, v108
	v_add_f16_e32 v102, v66, v73
	v_add_f16_e32 v76, v64, v76
	;; [unrolled: 1-line block ×3, first 2 shown]
	v_fmamk_f16 v79, v81, 0xbb7b, v120
	v_add_f16_e32 v78, v64, v78
	v_fma_f16 v86, v82, 0xbbc4, -v111
	v_add_f16_e32 v31, v84, v31
	v_fmamk_f16 v84, v83, 0xb3a8, v116
	v_fma_f16 v87, v82, 0xb9fd, -v122
	v_add_f16_e32 v32, v85, v32
	v_mul_f16_e32 v126, 0xb9fd, v98
	v_sub_f16_e32 v94, v73, v66
	v_sub_f16_e32 v85, v27, v22
	v_mul_f16_e32 v113, 0xbbc4, v102
	v_add_f16_e32 v79, v65, v79
	v_add_f16_e32 v76, v86, v76
	;; [unrolled: 1-line block ×4, first 2 shown]
	v_fmamk_f16 v86, v83, 0x394e, v126
	v_add_f16_e32 v84, v22, v27
	v_mul_f16_e32 v106, 0xb3a8, v94
	v_mul_f16_e32 v121, 0xb5ac, v102
	v_fmamk_f16 v87, v85, 0xb3a8, v113
	v_add_f16_e32 v103, v67, v72
	v_mul_f16_e32 v115, 0x3b7b, v94
	v_add_f16_e32 v79, v86, v79
	v_fma_f16 v86, v84, 0xbbc4, -v106
	v_mul_f16_e64 v128, 0x3770, v94
	v_fmamk_f16 v89, v85, 0x3b7b, v121
	v_add_f16_e32 v32, v87, v32
	v_sub_f16_e32 v87, v28, v21
	v_mul_f16_e32 v125, 0x3b15, v103
	v_fma_f16 v88, v84, 0xb5ac, -v115
	v_add_f16_e32 v31, v86, v31
	v_fma_f16 v86, v84, 0x3b15, -v128
	v_add_f16_e32 v77, v89, v77
	v_mul_f16_e64 v131, 0x3b15, v102
	v_sub_f16_e32 v96, v72, v67
	v_fmamk_f16 v99, v87, 0x3770, v125
	v_add_f16_e32 v76, v88, v76
	v_add_f16_e32 v78, v86, v78
	;; [unrolled: 1-line block ×3, first 2 shown]
	v_mul_f16_e32 v112, 0x394e, v96
	v_mul_f16_e32 v119, 0xb9fd, v103
	v_fma_f16 v88, 0x3770, v85, v131
	v_add_f16_e32 v77, v99, v77
	v_sub_f16_e32 v99, v71, v68
	v_mul_f16_e32 v123, 0x3770, v96
	v_fma_f16 v89, v86, 0xb9fd, -v112
	v_fmamk_f16 v90, v87, 0x394e, v119
	v_add_f16_e32 v79, v88, v79
	v_mul_f16_e64 v132, 0xbbf1, v96
	v_add_f16_e32 v104, v68, v71
	v_add_f16_e32 v88, v26, v29
	v_mul_f16_e32 v118, 0x3bf1, v99
	v_fma_f16 v91, v86, 0x3b15, -v123
	v_add_f16_e32 v31, v89, v31
	v_add_f16_e32 v32, v90, v32
	v_mul_f16_e64 v135, 0x2fb7, v103
	v_sub_f16_e32 v89, v29, v26
	v_mul_f16_e32 v124, 0x2fb7, v104
	v_fma_f16 v90, v86, 0x2fb7, -v132
	v_mul_f16_e32 v127, 0xba95, v99
	v_fma_f16 v107, v88, 0x2fb7, -v118
	v_add_f16_e32 v76, v91, v76
	v_fma_f16 v91, 0xbbf1, v87, v135
	v_fmamk_f16 v109, v89, 0x3bf1, v124
	v_add_f16_e32 v78, v90, v78
	v_fma_f16 v90, v88, 0x388b, -v127
	v_add_f16_e32 v31, v107, v31
	v_mul_f16_e64 v130, 0x388b, v104
	v_sub_f16_e32 v107, v70, v69
	v_mul_f16_e64 v136, 0x33a8, v99
	v_mul_f16_e64 v138, 0xbbc4, v104
	v_add_f16_e32 v79, v91, v79
	v_add_f16_e64 v140, v109, v32
	v_add_f16_e32 v76, v90, v76
	v_fma_f16 v32, 0xba95, v89, v130
	v_add_f16_e32 v90, v25, v30
	v_mul_f16_e32 v117, 0x3770, v107
	v_fma_f16 v91, v88, 0xbbc4, -v136
	v_fma_f16 v129, 0x33a8, v89, v138
	v_add_f16_e32 v109, v69, v70
	v_add_f16_e32 v77, v32, v77
	v_fma_f16 v32, v90, 0x3b15, -v117
	v_add_f16_e64 v141, v91, v78
	v_add_f16_e64 v142, v129, v79
	v_sub_f16_e32 v91, v30, v25
	v_mul_f16_e64 v129, 0x3b15, v109
	v_mul_f16_e64 v133, 0xb94e, v107
	;; [unrolled: 1-line block ×5, first 2 shown]
	v_add_f16_e32 v32, v32, v31
	v_fma_f16 v31, 0x3770, v91, v129
	v_fma_f16 v78, v90, 0xb9fd, -v133
	v_fma_f16 v143, 0xb94e, v91, v134
	v_fma_f16 v144, v90, 0x388b, -v137
	v_fma_f16 v145, 0x3a95, v91, v139
	v_add_f16_e64 v79, v31, v140
	v_add_f16_e32 v31, v78, v76
	v_add_f16_e64 v78, v143, v77
	v_add_f16_e64 v76, v144, v141
	;; [unrolled: 1-line block ×3, first 2 shown]
	global_wb scope:SCOPE_SE
	s_barrier_signal -1
	s_barrier_wait -1
	global_inv scope:SCOPE_SE
	s_and_saveexec_b32 s1, vcc_lo
	s_cbranch_execz .LBB0_17
; %bb.16:
	v_mul_f16_e64 v140, 0x388b, v80
	v_mul_f16_e64 v146, 0xb5ac, v82
	;; [unrolled: 1-line block ×4, first 2 shown]
	v_add_f16_e32 v23, v23, v64
	v_add_f16_e64 v97, v140, v97
	v_add_f16_e64 v101, v146, v101
	v_mul_f16_e64 v164, 0x2fb7, v88
	v_mul_f16_e64 v173, 0x3b15, v90
	v_add_f16_e32 v23, v24, v23
	v_add_f16_e32 v97, v64, v97
	v_mul_f16_e64 v180, 0xb3a8, v92
	v_mul_f16_e64 v196, 0xb94e, v92
	v_add_f16_e64 v24, v173, v117
	v_add_f16_e32 v23, v27, v23
	v_add_f16_e32 v97, v101, v97
	v_add_f16_e64 v101, v152, v106
	v_add_f16_e32 v27, v75, v65
	v_mul_f16_e32 v92, 0xb770, v92
	v_add_f16_e32 v23, v28, v23
	v_mul_f16_e32 v28, 0xba95, v93
	v_add_f16_e32 v97, v101, v97
	v_add_f16_e64 v101, v158, v112
	v_add_f16_e32 v27, v74, v27
	v_add_f16_e32 v23, v29, v23
	v_mul_f16_e64 v184, 0x3770, v93
	v_mul_f16_e64 v198, 0x3bf1, v93
	v_add_f16_e32 v97, v101, v97
	v_add_f16_e64 v101, v164, v118
	v_add_f16_e32 v27, v73, v27
	v_fmamk_f16 v29, v82, 0x388b, v28
	v_mul_f16_e32 v73, 0xbbf1, v94
	v_add_f16_e32 v23, v30, v23
	v_add_f16_e32 v97, v101, v97
	;; [unrolled: 1-line block ×3, first 2 shown]
	v_mul_f16_e32 v72, 0xbb7b, v96
	v_fmamk_f16 v30, v84, 0x2fb7, v73
	v_add_f16_e32 v23, v25, v23
	v_add_f16_e32 v24, v24, v97
	v_fmamk_f16 v97, v80, 0x3b15, v92
	v_add_f16_e32 v25, v71, v27
	v_mul_f16_e64 v166, 0xbbc4, v95
	v_add_f16_e32 v23, v26, v23
	v_mul_f16_e32 v26, 0xb94e, v99
	v_add_f16_e32 v93, v64, v97
	v_add_f16_e32 v25, v70, v25
	v_fma_f16 v171, 0x33a8, v81, v166
	v_mul_f16_e64 v172, 0x3b15, v98
	v_add_f16_e32 v21, v21, v23
	v_add_f16_e32 v29, v29, v93
	;; [unrolled: 1-line block ×3, first 2 shown]
	v_fmamk_f16 v25, v88, 0xb9fd, v26
	v_add_f16_e64 v171, v65, v171
	v_fma_f16 v176, 0xb770, v83, v172
	v_add_f16_e32 v29, v30, v29
	v_fmamk_f16 v30, v86, 0xb5ac, v72
	v_mul_f16_e64 v177, 0xb9fd, v102
	v_add_f16_e32 v21, v22, v21
	v_add_f16_e32 v22, v68, v23
	v_mul_f16_e64 v141, 0xba95, v81
	v_add_f16_e32 v29, v30, v29
	v_mul_f16_e32 v30, 0xb3a8, v107
	v_add_f16_e64 v171, v176, v171
	v_fma_f16 v176, 0x394e, v85, v177
	v_mul_f16_e64 v181, 0x388b, v103
	v_add_f16_e32 v23, v25, v29
	v_fmamk_f16 v25, v90, 0xbbc4, v30
	v_fma_f16 v183, 0xbbc4, v80, v180
	v_add_f16_e32 v9, v9, v21
	v_add_f16_e32 v21, v67, v22
	v_mul_f16_e64 v147, 0xbb7b, v83
	v_add_f16_e32 v22, v25, v23
	v_fma_f16 v23, v80, 0xbbc4, -v180
	v_sub_f16_e64 v100, v100, v141
	v_add_f16_e64 v171, v176, v171
	v_fma_f16 v176, 0xba95, v87, v181
	v_mul_f16_e64 v185, 0xb5ac, v104
	v_add_f16_e64 v183, v64, v183
	v_fma_f16 v186, 0x3b15, v82, v184
	v_mul_f16_e64 v187, 0xb94e, v94
	v_add_f16_e32 v23, v64, v23
	v_fma_f16 v25, v82, 0x3b15, -v184
	v_mul_f16_e64 v153, 0xb3a8, v85
	v_add_f16_e32 v100, v65, v100
	v_sub_f16_e64 v108, v108, v147
	v_add_f16_e64 v171, v176, v171
	v_fma_f16 v176, 0x3b7b, v89, v185
	v_mul_f16_e64 v188, 0x2fb7, v109
	v_add_f16_e64 v183, v186, v183
	v_fma_f16 v186, 0xb9fd, v84, v187
	v_mul_f16_e64 v189, 0x3a95, v96
	v_add_f16_e32 v23, v25, v23
	v_fma_f16 v25, v84, 0xb9fd, -v187
	v_mul_f16_e64 v159, 0x394e, v87
	v_add_f16_e32 v100, v108, v100
	;; [unrolled: 11-line block ×4, first 2 shown]
	v_sub_f16_e64 v108, v124, v165
	v_mul_f16_e32 v95, 0x3b15, v95
	v_add_f16_e32 v9, v10, v9
	v_add_f16_e32 v10, v66, v21
	v_mul_f16_e64 v142, 0x2fb7, v80
	v_mul_f16_e64 v143, 0xbbf1, v81
	;; [unrolled: 1-line block ×4, first 2 shown]
	v_add_f16_e64 v176, v65, v176
	v_fma_f16 v194, 0xbbf1, v83, v192
	v_mul_f16_e64 v195, 0x388b, v102
	v_add_f16_e64 v183, v186, v183
	v_fma_f16 v186, 0x2fb7, v90, v193
	v_add_f16_e32 v23, v25, v23
	v_fma_f16 v25, v90, 0x2fb7, -v193
	v_add_f16_e32 v100, v108, v100
	v_sub_f16_e64 v106, v129, v174
	v_fmamk_f16 v108, v81, 0x3770, v95
	v_mul_f16_e32 v98, 0x388b, v98
	v_add_f16_e32 v10, v53, v10
	v_mul_f16_e64 v148, 0xbbc4, v82
	v_mul_f16_e64 v149, 0xb3a8, v83
	v_sub_f16_e64 v110, v110, v143
	v_add_f16_e64 v105, v142, v105
	v_mul_f16_e64 v150, 0xb9fd, v82
	v_mul_f16_e64 v151, 0x394e, v83
	v_add_f16_e64 v176, v194, v176
	v_fma_f16 v194, 0x3a95, v85, v195
	v_mul_f16_e64 v197, 0xbbc4, v103
	v_add_f16_e64 v183, v186, v183
	v_fma_f16 v186, 0xb9fd, v80, v196
	v_sub_f16_e64 v120, v120, v145
	v_add_f16_e64 v114, v144, v114
	v_fmac_f16_e64 v166, 0xb3a8, v81
	v_fmac_f16_e64 v190, 0xb94e, v81
	v_add_f16_e32 v23, v25, v23
	v_fma_f16 v25, v80, 0xb9fd, -v196
	v_add_f16_e32 v100, v106, v100
	v_add_f16_e32 v106, v65, v108
	v_fmamk_f16 v108, v83, 0x3a95, v98
	v_mul_f16_e32 v102, 0x2fb7, v102
	v_add_f16_e32 v10, v39, v10
	v_fmac_f16_e32 v95, 0xb770, v81
	v_fma_f16 v39, v80, 0x3b15, -v92
	v_mul_f16_e64 v154, 0xb5ac, v84
	v_mul_f16_e64 v155, 0x3b7b, v85
	v_add_f16_e32 v110, v65, v110
	v_sub_f16_e64 v116, v116, v149
	v_add_f16_e32 v105, v64, v105
	v_add_f16_e64 v111, v148, v111
	v_mul_f16_e64 v156, 0x3b15, v84
	v_mul_f16_e64 v157, 0x3770, v85
	v_add_f16_e64 v176, v194, v176
	v_fma_f16 v194, 0xb3a8, v87, v197
	v_mul_f16_e64 v199, 0x3b15, v104
	v_add_f16_e64 v186, v64, v186
	v_fma_f16 v200, 0x2fb7, v82, v198
	v_mul_f16_e64 v201, 0xba95, v94
	v_add_f16_e32 v120, v65, v120
	v_sub_f16_e64 v126, v126, v151
	v_add_f16_e32 v114, v64, v114
	v_add_f16_e64 v122, v150, v122
	v_add_f16_e64 v21, v65, v166
	v_fmac_f16_e64 v172, 0x3770, v83
	v_add_f16_e64 v29, v65, v190
	v_fmac_f16_e64 v192, 0x3bf1, v83
	v_add_f16_e32 v25, v64, v25
	v_fma_f16 v53, v82, 0x2fb7, -v198
	v_add_f16_e32 v106, v108, v106
	v_fmamk_f16 v108, v85, 0x3bf1, v102
	v_mul_f16_e32 v103, 0xb5ac, v103
	v_add_f16_e32 v65, v65, v95
	v_fmac_f16_e32 v98, 0xba95, v83
	v_add_f16_e32 v39, v64, v39
	v_fma_f16 v28, v82, 0x388b, -v28
	v_mul_f16_e64 v160, 0x3b15, v86
	v_mul_f16_e64 v161, 0x3770, v87
	v_add_f16_e32 v110, v116, v110
	v_sub_f16_e64 v116, v121, v155
	v_add_f16_e32 v105, v111, v105
	v_add_f16_e64 v111, v154, v115
	v_mul_f16_e64 v162, 0x2fb7, v86
	v_mul_f16_e64 v163, 0xbbf1, v87
	v_add_f16_e64 v176, v194, v176
	v_fma_f16 v194, 0xb770, v89, v199
	v_mul_f16_e64 v202, 0xb5ac, v109
	v_add_f16_e64 v186, v200, v186
	v_fma_f16 v200, 0x388b, v84, v201
	v_mul_f16_e64 v203, 0x33a8, v96
	v_add_f16_e32 v120, v126, v120
	v_sub_f16_e64 v126, v131, v157
	v_add_f16_e32 v114, v122, v114
	v_add_f16_e64 v122, v156, v128
	v_add_f16_e64 v21, v172, v21
	v_fmac_f16_e64 v177, 0xb94e, v85
	v_add_f16_e64 v29, v192, v29
	v_fmac_f16_e64 v195, 0xba95, v85
	v_add_f16_e32 v25, v53, v25
	v_fma_f16 v53, v84, 0x388b, -v201
	v_add_f16_e32 v101, v108, v106
	v_fmamk_f16 v106, v87, 0x3b7b, v103
	v_mul_f16_e32 v74, 0xb9fd, v104
	v_add_f16_e32 v64, v98, v65
	v_fmac_f16_e32 v102, 0xbbf1, v85
	v_add_f16_e32 v28, v28, v39
	v_fma_f16 v39, v84, 0x2fb7, -v73
	v_mul_f16_e64 v167, 0x388b, v88
	v_mul_f16_e64 v168, 0xba95, v89
	v_add_f16_e32 v110, v116, v110
	v_sub_f16_e64 v116, v125, v161
	v_add_f16_e32 v105, v111, v105
	v_add_f16_e64 v111, v160, v123
	v_mul_f16_e64 v169, 0xbbc4, v88
	v_mul_f16_e64 v170, 0x33a8, v89
	v_add_f16_e64 v145, v194, v176
	v_fma_f16 v176, 0x3b7b, v91, v202
	v_add_f16_e64 v186, v200, v186
	v_fma_f16 v194, 0xbbc4, v86, v203
	v_mul_f16_e64 v151, 0x3770, v99
	v_add_f16_e32 v120, v126, v120
	v_sub_f16_e64 v126, v135, v163
	v_add_f16_e32 v114, v122, v114
	v_add_f16_e64 v122, v162, v132
	v_add_f16_e64 v21, v177, v21
	v_fmac_f16_e64 v181, 0x3a95, v87
	v_add_f16_e64 v29, v195, v29
	v_fmac_f16_e64 v197, 0x33a8, v87
	v_add_f16_e32 v25, v53, v25
	v_fma_f16 v53, v86, 0xbbc4, -v203
	v_add_f16_e32 v75, v106, v101
	v_fmamk_f16 v94, v89, 0x394e, v74
	v_mul_f16_e32 v70, 0xbbc4, v109
	v_add_f16_e32 v64, v102, v64
	v_fmac_f16_e32 v103, 0xbb7b, v87
	v_add_f16_e32 v28, v39, v28
	v_fma_f16 v39, v86, 0xb5ac, -v72
	v_mul_f16_e64 v175, 0xb9fd, v90
	v_mul_f16_e64 v178, 0xb94e, v91
	v_add_f16_e32 v110, v116, v110
	v_sub_f16_e64 v115, v130, v168
	v_add_f16_e32 v105, v111, v105
	v_add_f16_e64 v111, v167, v127
	v_mul_f16_e64 v179, 0x388b, v90
	v_mul_f16_e64 v182, 0x3a95, v91
	v_add_f16_e64 v145, v176, v145
	v_add_f16_e64 v176, v194, v186
	v_fma_f16 v131, 0x3b15, v88, v151
	v_mul_f16_e64 v144, 0xbb7b, v107
	v_add_f16_e32 v120, v126, v120
	v_sub_f16_e64 v126, v138, v170
	v_add_f16_e32 v114, v122, v114
	v_add_f16_e64 v122, v169, v136
	v_add_f16_e64 v21, v181, v21
	v_fmac_f16_e64 v185, 0xbb7b, v89
	v_add_f16_e64 v29, v197, v29
	v_fmac_f16_e64 v199, 0x3770, v89
	v_add_f16_e32 v25, v53, v25
	v_fma_f16 v53, v88, 0x3b15, -v151
	v_add_f16_e32 v27, v94, v75
	v_fmamk_f16 v69, v91, 0x33a8, v70
	v_add_f16_e32 v64, v103, v64
	v_fmac_f16_e32 v74, 0xb94e, v89
	v_add_f16_e32 v28, v39, v28
	v_fma_f16 v26, v88, 0xb9fd, -v26
	v_add_f16_e32 v110, v115, v110
	v_sub_f16_e64 v115, v134, v178
	v_add_f16_e32 v105, v111, v105
	v_add_f16_e64 v111, v175, v133
	v_add_f16_e64 v131, v131, v176
	v_fma_f16 v135, 0xb5ac, v90, v144
	v_add_f16_e32 v120, v126, v120
	v_sub_f16_e64 v126, v139, v182
	v_add_f16_e32 v114, v122, v114
	v_add_f16_e64 v121, v179, v137
	v_add_f16_e64 v21, v185, v21
	v_fmac_f16_e64 v188, 0x3bf1, v91
	v_add_f16_e64 v29, v199, v29
	v_fmac_f16_e64 v202, 0xbb7b, v91
	v_add_f16_e32 v25, v53, v25
	v_fma_f16 v39, v90, 0xb5ac, -v144
	v_add_f16_e32 v27, v69, v27
	v_add_f16_e32 v53, v74, v64
	v_fmac_f16_e32 v70, 0xb3a8, v91
	v_add_f16_e32 v26, v26, v28
	v_fma_f16 v28, v90, 0xbbc4, -v30
	v_and_b32_e32 v30, 0xffff, v37
	v_add_f16_e32 v110, v115, v110
	v_add_f16_e32 v105, v111, v105
	v_add_f16_e64 v128, v135, v131
	v_add_f16_e32 v120, v126, v120
	v_add_f16_e32 v114, v121, v114
	v_add_f16_e64 v21, v188, v21
	v_add_f16_e64 v29, v202, v29
	v_add_f16_e32 v25, v39, v25
	v_add_f16_e32 v37, v70, v53
	;; [unrolled: 1-line block ×3, first 2 shown]
	v_lshl_add_u32 v28, v30, 2, v35
	v_pack_b32_f16 v22, v22, v27
	v_pack_b32_f16 v9, v9, v10
	;; [unrolled: 1-line block ×9, first 2 shown]
	v_perm_b32 v29, v77, v76, 0x5040100
	v_perm_b32 v39, v79, v32, 0x5040100
	;; [unrolled: 1-line block ×3, first 2 shown]
	v_pack_b32_f16 v26, v26, v37
	ds_store_2addr_b32 v28, v9, v22 offset1:1
	ds_store_2addr_b32 v28, v24, v10 offset0:2 offset1:3
	ds_store_2addr_b32 v28, v27, v30 offset0:4 offset1:5
	;; [unrolled: 1-line block ×5, first 2 shown]
	ds_store_b32 v28, v26 offset:48
.LBB0_17:
	s_wait_alu 0xfffe
	s_or_b32 exec_lo, exec_lo, s1
	v_add_nc_u32_e32 v28, 0x400, v38
	global_wb scope:SCOPE_SE
	s_wait_dscnt 0x0
	s_barrier_signal -1
	s_barrier_wait -1
	global_inv scope:SCOPE_SE
	ds_load_2addr_b32 v[21:22], v38 offset1:39
	ds_load_2addr_b32 v[9:10], v38 offset0:78 offset1:143
	ds_load_2addr_b32 v[25:26], v28 offset0:30 offset1:69
	;; [unrolled: 1-line block ×3, first 2 shown]
	ds_load_b32 v27, v38 offset:1456
	s_and_saveexec_b32 s1, s0
	s_cbranch_execz .LBB0_19
; %bb.18:
	ds_load_b32 v76, v38 offset:468
	ds_load_2addr_b32 v[31:32], v28 offset0:4 offset1:147
	s_wait_dscnt 0x1
	v_lshrrev_b32_e32 v77, 16, v76
	s_wait_dscnt 0x0
	v_lshrrev_b32_e32 v78, 16, v31
	v_lshrrev_b32_e32 v79, 16, v32
.LBB0_19:
	s_wait_alu 0xfffe
	s_or_b32 exec_lo, exec_lo, s1
	s_wait_dscnt 0x3
	v_lshrrev_b32_e32 v29, 16, v10
	s_wait_dscnt 0x2
	v_lshrrev_b32_e32 v30, 16, v25
	;; [unrolled: 2-line block ×3, first 2 shown]
	v_lshrrev_b32_e32 v53, 16, v26
	v_lshrrev_b32_e32 v66, 16, v24
	v_mul_f16_e32 v65, v52, v29
	v_mul_f16_e32 v52, v52, v10
	;; [unrolled: 1-line block ×3, first 2 shown]
	s_wait_dscnt 0x0
	v_lshrrev_b32_e32 v67, 16, v27
	v_lshrrev_b32_e32 v28, 16, v21
	v_fmac_f16_e32 v65, v17, v10
	v_mul_f16_e32 v10, v50, v25
	v_fma_f16 v17, v17, v29, -v52
	v_mul_f16_e32 v29, v51, v39
	v_fmac_f16_e32 v68, v18, v25
	v_mul_f16_e32 v25, v51, v23
	v_fma_f16 v10, v18, v30, -v10
	v_mul_f16_e32 v18, v49, v53
	;; [unrolled: 4-line block ×4, first 2 shown]
	v_fmac_f16_e32 v25, v13, v24
	v_mul_f16_e32 v24, v47, v27
	v_fma_f16 v13, v13, v66, -v26
	v_add_f16_e32 v26, v65, v68
	v_fmac_f16_e32 v23, v14, v27
	v_add_f16_e32 v27, v21, v65
	v_fma_f16 v14, v14, v67, -v24
	v_add_f16_e32 v24, v17, v10
	v_fma_f16 v21, -0.5, v26, v21
	v_sub_f16_e32 v26, v17, v10
	v_add_f16_e32 v17, v28, v17
	v_lshrrev_b32_e32 v37, 16, v22
	v_fmac_f16_e32 v28, -0.5, v24
	v_sub_f16_e32 v24, v65, v68
	v_fmamk_f16 v30, v26, 0xbaee, v21
	v_add_f16_e32 v10, v17, v10
	v_add_f16_e32 v17, v29, v18
	v_fmac_f16_e32 v21, 0x3aee, v26
	v_fmamk_f16 v26, v24, 0x3aee, v28
	v_add_f16_e32 v39, v22, v29
	v_fmac_f16_e32 v28, 0xbaee, v24
	v_add_f16_e32 v24, v15, v16
	v_fmac_f16_e32 v22, -0.5, v17
	v_sub_f16_e32 v17, v15, v16
	v_add_f16_e32 v15, v37, v15
	v_add_f16_e32 v39, v39, v18
	v_fmac_f16_e32 v37, -0.5, v24
	v_sub_f16_e32 v18, v29, v18
	v_lshrrev_b32_e32 v64, 16, v9
	v_add_f16_e32 v15, v15, v16
	v_add_f16_e32 v16, v25, v23
	v_fmamk_f16 v24, v17, 0xbaee, v22
	v_fmac_f16_e32 v22, 0x3aee, v17
	v_fmamk_f16 v17, v18, 0x3aee, v37
	v_fmac_f16_e32 v37, 0xbaee, v18
	v_add_f16_e32 v18, v13, v14
	v_add_f16_e32 v27, v27, v68
	;; [unrolled: 1-line block ×3, first 2 shown]
	v_fmac_f16_e32 v9, -0.5, v16
	v_sub_f16_e32 v16, v13, v14
	v_add_f16_e32 v13, v64, v13
	v_fmac_f16_e32 v64, -0.5, v18
	v_sub_f16_e32 v18, v25, v23
	v_pack_b32_f16 v10, v27, v10
	v_fmamk_f16 v25, v16, 0xbaee, v9
	v_fmac_f16_e32 v9, 0x3aee, v16
	v_pack_b32_f16 v16, v30, v26
	v_add_f16_e32 v23, v29, v23
	v_add_f16_e32 v13, v13, v14
	v_fmamk_f16 v14, v18, 0x3aee, v64
	v_fmac_f16_e32 v64, 0xbaee, v18
	global_wb scope:SCOPE_SE
	s_barrier_signal -1
	s_barrier_wait -1
	global_inv scope:SCOPE_SE
	ds_store_2addr_b32 v42, v10, v16 offset1:13
	v_pack_b32_f16 v10, v21, v28
	v_pack_b32_f16 v15, v39, v15
	;; [unrolled: 1-line block ×7, first 2 shown]
	ds_store_b32 v42, v10 offset:104
	ds_store_2addr_b32 v46, v15, v16 offset1:13
	ds_store_b32 v46, v17 offset:104
	ds_store_2addr_b32 v45, v13, v14 offset1:13
	ds_store_b32 v45, v9 offset:104
	s_and_saveexec_b32 s1, s0
	s_cbranch_execz .LBB0_21
; %bb.20:
	v_mul_f16_e32 v9, v44, v31
	v_mul_f16_e32 v10, v43, v32
	;; [unrolled: 1-line block ×4, first 2 shown]
	s_delay_alu instid0(VALU_DEP_4) | instskip(NEXT) | instid1(VALU_DEP_4)
	v_fma_f16 v9, v11, v78, -v9
	v_fma_f16 v10, v12, v79, -v10
	s_delay_alu instid0(VALU_DEP_4) | instskip(NEXT) | instid1(VALU_DEP_4)
	v_fmac_f16_e32 v13, v11, v31
	v_fmac_f16_e32 v14, v12, v32
	v_mul_u32_u24_e32 v12, 39, v41
	v_add_f16_e32 v17, v77, v9
	v_add_f16_e32 v11, v9, v10
	v_sub_f16_e32 v9, v9, v10
	v_add_f16_e32 v15, v13, v14
	v_sub_f16_e32 v16, v13, v14
	v_add_f16_e32 v13, v76, v13
	v_fma_f16 v11, -0.5, v11, v77
	v_add_f16_e32 v10, v17, v10
	v_fma_f16 v15, -0.5, v15, v76
	v_add_nc_u32_e32 v12, v12, v40
	v_add_f16_e32 v13, v13, v14
	v_fmamk_f16 v17, v16, 0xbaee, v11
	v_fmac_f16_e32 v11, 0x3aee, v16
	v_fmamk_f16 v16, v9, 0x3aee, v15
	v_fmac_f16_e32 v15, 0xbaee, v9
	v_lshl_add_u32 v9, v12, 2, v35
	v_pack_b32_f16 v10, v13, v10
	s_delay_alu instid0(VALU_DEP_4) | instskip(NEXT) | instid1(VALU_DEP_4)
	v_pack_b32_f16 v12, v16, v17
	v_pack_b32_f16 v11, v15, v11
	ds_store_2addr_b32 v9, v10, v11 offset1:13
	ds_store_b32 v9, v12 offset:104
.LBB0_21:
	s_wait_alu 0xfffe
	s_or_b32 exec_lo, exec_lo, s1
	global_wb scope:SCOPE_SE
	s_wait_dscnt 0x0
	s_barrier_signal -1
	s_barrier_wait -1
	global_inv scope:SCOPE_SE
	ds_load_2addr_b32 v[9:10], v38 offset1:39
	ds_load_b32 v21, v38 offset:312
	ds_load_2addr_b32 v[11:12], v38 offset0:117 offset1:156
	ds_load_2addr_b32 v[13:14], v38 offset0:195 offset1:234
	v_add_nc_u32_e32 v17, 0x400, v38
	ds_load_2addr_b32 v[15:16], v17 offset0:17 offset1:56
	ds_load_2addr_b32 v[17:18], v17 offset0:95 offset1:134
	s_wait_dscnt 0x5
	v_lshrrev_b32_e32 v23, 16, v10
	s_wait_dscnt 0x4
	v_lshrrev_b32_e32 v24, 16, v21
	;; [unrolled: 2-line block ×3, first 2 shown]
	v_lshrrev_b32_e32 v26, 16, v12
	v_mul_f16_e32 v29, v62, v10
	v_mul_f16_e32 v38, v62, v23
	s_wait_dscnt 0x2
	v_lshrrev_b32_e32 v27, 16, v13
	v_mul_f16_e32 v39, v63, v24
	v_lshrrev_b32_e32 v22, 16, v9
	v_fma_f16 v23, v4, v23, -v29
	v_mul_f16_e32 v29, v61, v25
	v_fmac_f16_e32 v38, v4, v10
	v_mul_f16_e32 v4, v60, v26
	v_mul_f16_e32 v10, v60, v12
	;; [unrolled: 1-line block ×4, first 2 shown]
	v_fmac_f16_e32 v39, v5, v21
	v_fmac_f16_e32 v29, v6, v11
	;; [unrolled: 1-line block ×3, first 2 shown]
	v_mul_f16_e32 v11, v59, v27
	v_fma_f16 v7, v7, v26, -v10
	v_add_f16_e32 v10, v9, v38
	v_lshrrev_b32_e32 v28, 16, v14
	v_fma_f16 v5, v5, v24, -v30
	v_mul_f16_e32 v12, v59, v13
	v_fmac_f16_e32 v11, v0, v13
	v_add_f16_e32 v13, v22, v23
	v_add_f16_e32 v10, v10, v39
	s_wait_dscnt 0x1
	v_lshrrev_b32_e32 v32, 16, v15
	v_fma_f16 v6, v6, v25, -v31
	v_mul_f16_e32 v21, v58, v28
	v_fma_f16 v0, v0, v27, -v12
	v_mul_f16_e32 v12, v58, v14
	v_add_f16_e32 v13, v13, v5
	v_add_f16_e32 v10, v10, v29
	v_lshrrev_b32_e32 v35, 16, v16
	v_fmac_f16_e32 v21, v1, v14
	v_mul_f16_e32 v14, v57, v32
	v_fma_f16 v1, v1, v28, -v12
	v_add_f16_e32 v12, v13, v6
	v_add_f16_e32 v10, v10, v4
	s_wait_dscnt 0x0
	v_lshrrev_b32_e32 v37, 16, v17
	v_mul_f16_e32 v24, v57, v15
	v_fmac_f16_e32 v14, v2, v15
	v_mul_f16_e32 v13, v56, v35
	v_add_f16_e32 v12, v12, v7
	v_add_f16_e32 v10, v10, v11
	v_mul_f16_e32 v15, v56, v16
	v_lshrrev_b32_e32 v40, 16, v18
	v_fma_f16 v2, v2, v32, -v24
	v_mul_f16_e32 v24, v54, v37
	v_fmac_f16_e32 v13, v3, v16
	v_add_f16_e32 v12, v12, v0
	v_add_f16_e32 v10, v10, v21
	v_fma_f16 v3, v3, v35, -v15
	v_mul_f16_e32 v15, v55, v18
	v_fmac_f16_e32 v24, v19, v17
	v_add_f16_e32 v12, v12, v1
	v_add_f16_e32 v10, v10, v14
	v_mul_f16_e32 v16, v54, v17
	v_mul_f16_e32 v17, v55, v40
	v_fma_f16 v15, v20, v40, -v15
	v_add_f16_e32 v12, v12, v2
	v_add_f16_e32 v10, v10, v13
	v_fma_f16 v16, v19, v37, -v16
	v_fmac_f16_e32 v17, v20, v18
	v_sub_f16_e32 v18, v23, v15
	v_add_f16_e32 v12, v12, v3
	v_add_f16_e32 v10, v10, v24
	;; [unrolled: 1-line block ×4, first 2 shown]
	v_mul_f16_e32 v23, 0xb853, v18
	v_sub_f16_e32 v45, v5, v16
	v_add_f16_e32 v12, v12, v16
	v_sub_f16_e32 v25, v38, v17
	v_mul_f16_e32 v26, 0x3abb, v19
	v_fmamk_f16 v27, v20, 0x3abb, v23
	v_add_f16_e32 v10, v10, v17
	v_mul_f16_e32 v17, 0xbb47, v18
	v_mul_f16_e32 v30, 0x36a6, v19
	;; [unrolled: 1-line block ×8, first 2 shown]
	v_add_f16_e32 v47, v39, v24
	v_mul_f16_e32 v48, 0xbb47, v45
	v_add_f16_e32 v5, v5, v16
	v_add_f16_e32 v12, v12, v15
	v_fmamk_f16 v15, v25, 0x3853, v26
	v_add_f16_e32 v27, v9, v27
	v_fma_f16 v23, v20, 0x3abb, -v23
	v_fmac_f16_e32 v26, 0xb853, v25
	v_fmamk_f16 v28, v20, 0x36a6, v17
	v_fmamk_f16 v32, v25, 0x3b47, v30
	v_fma_f16 v17, v20, 0x36a6, -v17
	v_fmac_f16_e32 v30, 0xbb47, v25
	v_fmamk_f16 v35, v20, 0xb08e, v31
	v_fmamk_f16 v38, v25, 0x3beb, v37
	;; [unrolled: 4-line block ×4, first 2 shown]
	v_fma_f16 v16, v20, 0xbbad, -v18
	v_fmac_f16_e32 v19, 0xb482, v25
	v_sub_f16_e32 v18, v39, v24
	v_fmamk_f16 v20, v47, 0x36a6, v48
	v_mul_f16_e32 v24, 0x36a6, v5
	v_add_f16_e32 v15, v22, v15
	v_add_f16_e32 v23, v9, v23
	;; [unrolled: 1-line block ×20, first 2 shown]
	v_fmamk_f16 v20, v18, 0x3b47, v24
	v_mul_f16_e32 v22, 0xba0c, v45
	v_fma_f16 v27, v47, 0x36a6, -v48
	v_fmac_f16_e32 v24, 0xbb47, v18
	v_mul_f16_e32 v39, 0xb93d, v5
	v_add_f16_e32 v15, v20, v15
	v_fmamk_f16 v20, v47, 0xb93d, v22
	v_add_f16_e32 v23, v27, v23
	v_add_f16_e32 v24, v24, v26
	v_fmamk_f16 v26, v18, 0x3a0c, v39
	v_mul_f16_e32 v27, 0x3482, v45
	v_add_f16_e32 v20, v20, v28
	v_fma_f16 v22, v47, 0xb93d, -v22
	v_fmac_f16_e32 v39, 0xba0c, v18
	v_add_f16_e32 v26, v26, v32
	v_fmamk_f16 v28, v47, 0xbbad, v27
	v_mul_f16_e32 v32, 0xbbad, v5
	v_add_f16_e32 v17, v22, v17
	v_add_f16_e32 v22, v39, v30
	v_mul_f16_e32 v30, 0x3beb, v45
	v_add_f16_e32 v28, v28, v35
	v_fmamk_f16 v35, v18, 0xb482, v32
	v_fma_f16 v27, v47, 0xbbad, -v27
	v_fmac_f16_e32 v32, 0x3482, v18
	v_mul_f16_e32 v46, 0xb08e, v5
	v_fmamk_f16 v39, v47, 0xb08e, v30
	v_mul_f16_e32 v5, 0x3abb, v5
	v_add_f16_e32 v27, v27, v31
	v_add_f16_e32 v31, v32, v37
	v_fmamk_f16 v37, v18, 0xbbeb, v46
	v_fma_f16 v30, v47, 0xb08e, -v30
	v_fmac_f16_e32 v46, 0x3beb, v18
	v_add_f16_e32 v35, v35, v38
	v_add_f16_e32 v32, v39, v42
	v_mul_f16_e32 v38, 0x3853, v45
	v_fmamk_f16 v42, v18, 0xb853, v5
	v_add_f16_e32 v30, v30, v40
	v_add_f16_e32 v40, v46, v41
	v_sub_f16_e32 v41, v6, v3
	v_add_f16_e32 v3, v6, v3
	v_fmamk_f16 v39, v47, 0x3abb, v38
	v_add_f16_e32 v25, v42, v25
	v_add_f16_e32 v42, v29, v13
	v_mul_f16_e32 v6, 0xbbeb, v41
	v_fma_f16 v38, v47, 0x3abb, -v38
	v_fmac_f16_e32 v5, 0x3853, v18
	v_sub_f16_e32 v13, v29, v13
	v_mul_f16_e32 v18, 0xb08e, v3
	v_fmamk_f16 v29, v42, 0xb08e, v6
	v_add_f16_e32 v9, v38, v9
	v_add_f16_e32 v5, v5, v16
	v_mul_f16_e32 v16, 0x3482, v41
	v_fmamk_f16 v38, v13, 0x3beb, v18
	v_add_f16_e32 v19, v29, v19
	v_fma_f16 v6, v42, 0xb08e, -v6
	v_fmac_f16_e32 v18, 0xbbeb, v13
	v_fmamk_f16 v29, v42, 0xbbad, v16
	v_add_f16_e32 v15, v38, v15
	v_mul_f16_e32 v38, 0xbbad, v3
	v_add_f16_e32 v6, v6, v23
	v_add_f16_e32 v18, v18, v24
	v_add_f16_e32 v20, v29, v20
	v_mul_f16_e32 v23, 0x3b47, v41
	v_fmamk_f16 v24, v13, 0xb482, v38
	v_fma_f16 v16, v42, 0xbbad, -v16
	v_fmac_f16_e32 v38, 0x3482, v13
	v_mul_f16_e32 v29, 0x36a6, v3
	v_add_f16_e32 v37, v37, v43
	v_fmamk_f16 v43, v42, 0x36a6, v23
	v_add_f16_e32 v16, v16, v17
	v_add_f16_e32 v17, v38, v22
	v_fmamk_f16 v22, v13, 0xbb47, v29
	v_add_f16_e32 v24, v24, v26
	v_add_f16_e32 v26, v43, v28
	v_mul_f16_e32 v28, 0xb853, v41
	v_fma_f16 v23, v42, 0x36a6, -v23
	v_fmac_f16_e32 v29, 0x3b47, v13
	v_add_f16_e32 v22, v22, v35
	v_mul_f16_e32 v35, 0x3abb, v3
	v_fmamk_f16 v38, v42, 0x3abb, v28
	v_add_f16_e32 v23, v23, v27
	v_add_f16_e32 v27, v29, v31
	v_mul_f16_e32 v29, 0xba0c, v41
	v_fmamk_f16 v31, v13, 0x3853, v35
	v_add_f16_e32 v39, v39, v44
	v_add_f16_e32 v32, v38, v32
	v_fma_f16 v28, v42, 0x3abb, -v28
	v_fmac_f16_e32 v35, 0xb853, v13
	v_fmamk_f16 v38, v42, 0xb93d, v29
	v_add_f16_e32 v31, v31, v37
	v_mul_f16_e32 v3, 0xb93d, v3
	v_sub_f16_e32 v37, v7, v2
	v_add_f16_e32 v2, v7, v2
	v_add_f16_e32 v28, v28, v30
	;; [unrolled: 1-line block ×4, first 2 shown]
	v_fmamk_f16 v38, v13, 0x3a0c, v3
	v_fma_f16 v29, v42, 0xb93d, -v29
	v_add_f16_e32 v7, v4, v14
	v_mul_f16_e32 v39, 0xba0c, v37
	v_fmac_f16_e32 v3, 0xba0c, v13
	v_sub_f16_e32 v4, v4, v14
	v_mul_f16_e32 v13, 0xb93d, v2
	v_add_f16_e32 v14, v38, v25
	v_fmamk_f16 v25, v7, 0xb93d, v39
	v_add_f16_e32 v9, v29, v9
	v_add_f16_e32 v3, v3, v5
	v_fmamk_f16 v5, v4, 0x3a0c, v13
	v_mul_f16_e32 v29, 0x3beb, v37
	v_fmac_f16_e32 v13, 0xba0c, v4
	v_add_f16_e32 v19, v25, v19
	v_fma_f16 v25, v7, 0xb93d, -v39
	v_add_f16_e32 v5, v5, v15
	v_fmamk_f16 v15, v7, 0xb08e, v29
	v_mul_f16_e32 v38, 0xb08e, v2
	v_add_f16_e32 v13, v13, v18
	v_mul_f16_e32 v18, 0xb853, v37
	v_add_f16_e32 v6, v25, v6
	v_add_f16_e32 v15, v15, v20
	v_fmamk_f16 v20, v4, 0xbbeb, v38
	v_fma_f16 v25, v7, 0xb08e, -v29
	v_fmamk_f16 v29, v7, 0x3abb, v18
	v_mul_f16_e32 v39, 0x3abb, v2
	v_fma_f16 v18, v7, 0x3abb, -v18
	v_add_f16_e32 v20, v20, v24
	v_add_f16_e32 v16, v25, v16
	;; [unrolled: 1-line block ×3, first 2 shown]
	v_fmamk_f16 v25, v4, 0x3853, v39
	v_mul_f16_e32 v26, 0xb482, v37
	v_mul_f16_e32 v29, 0xbbad, v2
	v_add_f16_e32 v18, v18, v23
	v_mul_f16_e32 v37, 0x3b47, v37
	v_add_f16_e32 v22, v25, v22
	v_fmamk_f16 v25, v7, 0xbbad, v26
	v_fmamk_f16 v23, v4, 0x3482, v29
	v_fma_f16 v26, v7, 0xbbad, -v26
	v_fmac_f16_e32 v29, 0xb482, v4
	v_mul_f16_e32 v2, 0x36a6, v2
	v_add_f16_e32 v25, v25, v32
	v_add_f16_e32 v23, v23, v31
	v_fmamk_f16 v31, v7, 0x36a6, v37
	v_add_f16_e32 v26, v26, v28
	v_sub_f16_e32 v28, v0, v1
	v_add_f16_e32 v29, v29, v30
	v_add_f16_e32 v32, v11, v21
	;; [unrolled: 1-line block ×4, first 2 shown]
	v_mul_f16_e32 v35, 0xb482, v28
	v_fmac_f16_e32 v38, 0x3beb, v4
	v_fmac_f16_e32 v39, 0xb853, v4
	v_fmamk_f16 v31, v4, 0xbb47, v2
	v_fma_f16 v1, v7, 0x36a6, -v37
	v_fmac_f16_e32 v2, 0x3b47, v4
	v_sub_f16_e32 v4, v11, v21
	v_fmamk_f16 v7, v32, 0xbbad, v35
	v_mul_f16_e32 v11, 0xbbad, v0
	v_add_f16_e32 v1, v1, v9
	v_add_f16_e32 v2, v2, v3
	v_mul_f16_e32 v9, 0x3853, v28
	v_add_f16_e32 v3, v7, v19
	v_fmamk_f16 v7, v4, 0x3482, v11
	v_fma_f16 v19, v32, 0xbbad, -v35
	v_fmac_f16_e32 v11, 0xb482, v4
	v_mul_f16_e32 v21, 0x3abb, v0
	v_add_f16_e32 v17, v38, v17
	v_add_f16_e32 v5, v7, v5
	v_fmamk_f16 v7, v32, 0x3abb, v9
	v_add_f16_e32 v6, v19, v6
	v_add_f16_e32 v11, v11, v13
	v_fmamk_f16 v13, v4, 0xb853, v21
	v_mul_f16_e32 v19, 0xba0c, v28
	v_fma_f16 v9, v32, 0x3abb, -v9
	v_fmac_f16_e32 v21, 0x3853, v4
	v_add_f16_e32 v7, v7, v15
	v_add_f16_e32 v13, v13, v20
	v_fmamk_f16 v15, v32, 0xb93d, v19
	v_mul_f16_e32 v20, 0xb93d, v0
	v_add_f16_e32 v9, v9, v16
	v_add_f16_e32 v16, v21, v17
	v_mul_f16_e32 v17, 0x3b47, v28
	v_add_f16_e32 v27, v39, v27
	v_add_f16_e32 v15, v15, v24
	v_fmamk_f16 v21, v4, 0x3a0c, v20
	v_fma_f16 v19, v32, 0xb93d, -v19
	v_fmac_f16_e32 v20, 0xba0c, v4
	v_fmamk_f16 v24, v32, 0x36a6, v17
	v_add_f16_e32 v14, v31, v14
	v_mul_f16_e32 v31, 0x36a6, v0
	v_add_f16_e32 v18, v19, v18
	v_add_f16_e32 v19, v20, v27
	;; [unrolled: 1-line block ×3, first 2 shown]
	v_fma_f16 v17, v32, 0x36a6, -v17
	v_mul_f16_e32 v24, 0xbbeb, v28
	v_mul_f16_e32 v0, 0xb08e, v0
	v_add_f16_e32 v21, v21, v22
	v_fmamk_f16 v22, v4, 0xbb47, v31
	v_add_f16_e32 v17, v17, v26
	v_fmamk_f16 v25, v32, 0xb08e, v24
	v_fmamk_f16 v26, v4, 0x3beb, v0
	v_fma_f16 v24, v32, 0xb08e, -v24
	v_fmac_f16_e32 v0, 0xbbeb, v4
	v_fmac_f16_e32 v31, 0x3b47, v4
	v_pack_b32_f16 v4, v10, v12
	v_add_f16_e32 v22, v22, v23
	v_add_f16_e32 v10, v25, v30
	;; [unrolled: 1-line block ×6, first 2 shown]
	ds_store_b32 v36, v4
	v_pack_b32_f16 v3, v3, v5
	v_pack_b32_f16 v4, v7, v13
	v_add_nc_u32_e32 v2, 0x400, v36
	v_pack_b32_f16 v5, v15, v21
	v_pack_b32_f16 v7, v20, v22
	;; [unrolled: 1-line block ×8, first 2 shown]
	ds_store_2addr_b32 v36, v3, v4 offset0:39 offset1:78
	ds_store_2addr_b32 v36, v5, v7 offset0:117 offset1:156
	;; [unrolled: 1-line block ×5, first 2 shown]
	global_wb scope:SCOPE_SE
	s_wait_dscnt 0x0
	s_barrier_signal -1
	s_barrier_wait -1
	global_inv scope:SCOPE_SE
	s_and_b32 exec_lo, exec_lo, vcc_lo
	s_cbranch_execz .LBB0_23
; %bb.22:
	s_clause 0x6
	global_load_b32 v0, v33, s[20:21]
	global_load_b32 v1, v33, s[20:21] offset:132
	global_load_b32 v7, v33, s[20:21] offset:264
	;; [unrolled: 1-line block ×6, first 2 shown]
	ds_load_b32 v24, v36
	ds_load_2addr_b32 v[13:14], v36 offset0:33 offset1:66
	ds_load_2addr_b32 v[15:16], v36 offset0:99 offset1:132
	;; [unrolled: 1-line block ×3, first 2 shown]
	v_mad_co_u64_u32 v[11:12], null, s6, v8, 0
	v_mad_co_u64_u32 v[17:18], null, s4, v34, 0
	s_mov_b32 s24, 0x58e9ebb6
	s_mov_b32 s25, 0x3f631877
	s_mul_u64 s[22:23], s[4:5], 0x84
	s_clause 0x3
	global_load_b32 v3, v33, s[20:21] offset:924
	global_load_b32 v4, v33, s[20:21] offset:1056
	;; [unrolled: 1-line block ×4, first 2 shown]
	s_wait_dscnt 0x2
	v_mad_co_u64_u32 v[21:22], null, s7, v8, v[12:13]
	v_lshrrev_b32_e32 v8, 16, v24
	s_wait_dscnt 0x0
	v_mad_co_u64_u32 v[22:23], null, s5, v34, v[18:19]
	v_lshrrev_b32_e32 v23, 16, v13
	v_lshrrev_b32_e32 v26, 16, v14
	;; [unrolled: 1-line block ×3, first 2 shown]
	v_mov_b32_e32 v12, v21
	v_lshrrev_b32_e32 v28, 16, v16
	v_lshrrev_b32_e32 v29, 16, v19
	v_mov_b32_e32 v18, v22
	v_lshrrev_b32_e32 v40, 16, v20
	v_lshlrev_b64_e32 v[11:12], 2, v[11:12]
	s_delay_alu instid0(VALU_DEP_3)
	v_lshlrev_b64_e32 v[17:18], 2, v[17:18]
	s_wait_loadcnt 0xa
	v_lshrrev_b32_e32 v21, 16, v0
	s_wait_loadcnt 0x9
	v_lshrrev_b32_e32 v22, 16, v1
	;; [unrolled: 2-line block ×5, first 2 shown]
	v_mul_f16_e32 v30, v8, v21
	v_mul_f16_e32 v21, v24, v21
	;; [unrolled: 1-line block ×4, first 2 shown]
	s_wait_loadcnt 0x5
	v_lshrrev_b32_e32 v35, 16, v25
	v_fmac_f16_e32 v30, v24, v0
	v_mul_f16_e32 v24, v23, v22
	v_fma_f16 v0, v0, v8, -v21
	v_mul_f16_e32 v8, v14, v31
	v_fmac_f16_e32 v38, v14, v7
	v_cvt_f32_f16_e32 v22, v30
	v_fmac_f16_e32 v24, v13, v1
	v_cvt_f32_f16_e32 v0, v0
	v_fma_f16 v13, v1, v23, -v37
	v_mul_f16_e32 v30, v27, v32
	v_cvt_f64_f32_e32 v[21:22], v22
	v_cvt_f32_f16_e32 v23, v24
	v_cvt_f64_f32_e32 v[0:1], v0
	v_cvt_f32_f16_e32 v24, v13
	v_mul_f16_e32 v31, v15, v32
	v_mul_f16_e32 v32, v28, v34
	v_cvt_f64_f32_e32 v[13:14], v23
	v_fma_f16 v23, v7, v26, -v8
	v_cvt_f32_f16_e32 v26, v38
	v_cvt_f64_f32_e32 v[7:8], v24
	v_fmac_f16_e32 v30, v15, v9
	v_mul_f16_e32 v34, v16, v34
	v_cvt_f32_f16_e32 v15, v23
	v_cvt_f64_f32_e32 v[23:24], v26
	v_mul_f16_e32 v37, v29, v35
	v_fma_f16 v9, v9, v27, -v31
	v_fmac_f16_e32 v32, v16, v10
	v_cvt_f32_f16_e32 v26, v30
	v_cvt_f64_f32_e32 v[15:16], v15
	v_mul_f16_e32 v35, v19, v35
	v_fma_f16 v27, v10, v28, -v34
	v_fmac_f16_e32 v37, v19, v25
	v_cvt_f32_f16_e32 v19, v9
	v_cvt_f64_f32_e32 v[9:10], v26
	v_fma_f16 v28, v25, v29, -v35
	v_cvt_f32_f16_e32 v29, v32
	v_cvt_f32_f16_e32 v30, v27
	v_cvt_f64_f32_e32 v[25:26], v19
	v_cvt_f32_f16_e32 v19, v37
	v_cvt_f32_f16_e32 v34, v28
	v_cvt_f64_f32_e32 v[27:28], v29
	v_cvt_f64_f32_e32 v[29:30], v30
	s_wait_loadcnt 0x4
	v_lshrrev_b32_e32 v38, 16, v39
	v_cvt_f64_f32_e32 v[31:32], v19
	v_add_co_u32 v19, vcc_lo, s8, v11
	v_add_co_ci_u32_e32 v37, vcc_lo, s9, v12, vcc_lo
	v_mul_f64_e32 v[21:22], s[24:25], v[21:22]
	s_delay_alu instid0(VALU_DEP_3)
	v_add_co_u32 v17, vcc_lo, v19, v17
	v_mul_f64_e32 v[11:12], s[24:25], v[0:1]
	s_wait_alu 0xfffd
	v_add_co_ci_u32_e32 v18, vcc_lo, v37, v18, vcc_lo
	v_mul_f64_e32 v[13:14], s[24:25], v[13:14]
	v_add_co_u32 v37, vcc_lo, v17, s22
	v_mul_f64_e32 v[7:8], s[24:25], v[7:8]
	v_mul_f16_e32 v0, v40, v38
	v_mul_f16_e32 v1, v20, v38
	s_wait_alu 0xfffd
	v_add_co_ci_u32_e32 v38, vcc_lo, s23, v18, vcc_lo
	v_mul_f64_e32 v[23:24], s[24:25], v[23:24]
	v_add_co_u32 v19, vcc_lo, v37, s22
	v_fmac_f16_e32 v0, v20, v39
	v_mul_f64_e32 v[15:16], s[24:25], v[15:16]
	s_wait_alu 0xfffd
	v_add_co_ci_u32_e32 v20, vcc_lo, s23, v38, vcc_lo
	v_fma_f16 v1, v39, v40, -v1
	v_add_co_u32 v39, vcc_lo, v19, s22
	v_mul_f64_e32 v[9:10], s[24:25], v[9:10]
	s_wait_alu 0xfffd
	v_add_co_ci_u32_e32 v40, vcc_lo, s23, v20, vcc_lo
	v_mul_f64_e32 v[25:26], s[24:25], v[25:26]
	v_cvt_f64_f32_e32 v[34:35], v34
	v_cvt_f32_f16_e32 v0, v0
	v_mul_f64_e32 v[27:28], s[24:25], v[27:28]
	v_mul_f64_e32 v[29:30], s[24:25], v[29:30]
	v_cvt_f32_f16_e32 v1, v1
	v_mul_f64_e32 v[31:32], s[24:25], v[31:32]
	v_cvt_f64_f32_e32 v[41:42], v0
	s_delay_alu instid0(VALU_DEP_3) | instskip(SKIP_3) | instid1(VALU_DEP_3)
	v_cvt_f64_f32_e32 v[43:44], v1
	v_and_or_b32 v21, 0x1ff, v22, v21
	v_and_or_b32 v11, 0x1ff, v12, v11
	v_lshrrev_b32_e32 v45, 8, v12
	v_cmp_ne_u32_e32 vcc_lo, 0, v21
	v_and_or_b32 v13, 0x1ff, v14, v13
	v_bfe_u32 v46, v12, 20, 11
	v_lshrrev_b32_e32 v47, 8, v14
	v_and_or_b32 v7, 0x1ff, v8, v7
	s_wait_alu 0xfffd
	v_cndmask_b32_e64 v21, 0, 1, vcc_lo
	v_cmp_ne_u32_e32 vcc_lo, 0, v11
	v_bfe_u32 v48, v14, 20, 11
	v_bfe_u32 v50, v8, 20, 11
	v_and_or_b32 v23, 0x1ff, v24, v23
	v_sub_nc_u32_e32 v66, 0x3f1, v46
	s_wait_alu 0xfffd
	v_cndmask_b32_e64 v11, 0, 1, vcc_lo
	v_cmp_ne_u32_e32 vcc_lo, 0, v13
	v_and_or_b32 v15, 0x1ff, v16, v15
	v_lshrrev_b32_e32 v49, 8, v8
	v_bfe_u32 v52, v24, 20, 11
	v_and_or_b32 v11, 0xffe, v45, v11
	s_wait_alu 0xfffd
	v_cndmask_b32_e64 v13, 0, 1, vcc_lo
	v_cmp_ne_u32_e32 vcc_lo, 0, v7
	v_and_or_b32 v9, 0x1ff, v10, v9
	v_bfe_u32 v54, v16, 20, 11
	v_add_nc_u32_e32 v46, 0xfffffc10, v46
	v_and_or_b32 v25, 0x1ff, v26, v25
	s_wait_alu 0xfffd
	v_cndmask_b32_e64 v7, 0, 1, vcc_lo
	v_cmp_ne_u32_e32 vcc_lo, 0, v23
	v_and_or_b32 v27, 0x1ff, v28, v27
	v_and_or_b32 v29, 0x1ff, v30, v29
	v_mul_f64_e32 v[0:1], s[24:25], v[34:35]
	v_lshrrev_b32_e32 v34, 8, v22
	s_wait_alu 0xfffd
	v_cndmask_b32_e64 v23, 0, 1, vcc_lo
	v_cmp_ne_u32_e32 vcc_lo, 0, v15
	v_and_or_b32 v31, 0x1ff, v32, v31
	v_bfe_u32 v35, v22, 20, 11
	v_and_or_b32 v21, 0xffe, v34, v21
	v_sub_nc_u32_e32 v67, 0x3f1, v48
	s_wait_alu 0xfffd
	v_cndmask_b32_e64 v15, 0, 1, vcc_lo
	v_cmp_ne_u32_e32 vcc_lo, 0, v9
	v_sub_nc_u32_e32 v65, 0x3f1, v35
	v_add_nc_u32_e32 v35, 0xfffffc10, v35
	v_sub_nc_u32_e32 v68, 0x3f1, v50
	v_med3_i32 v45, v66, 0, 13
	s_wait_alu 0xfffd
	v_cndmask_b32_e64 v9, 0, 1, vcc_lo
	v_cmp_ne_u32_e32 vcc_lo, 0, v25
	v_med3_i32 v34, v65, 0, 13
	v_and_or_b32 v13, 0xffe, v47, v13
	v_or_b32_e32 v65, 0x1000, v21
	v_lshl_or_b32 v66, v35, 12, v21
	s_wait_alu 0xfffd
	v_cndmask_b32_e64 v25, 0, 1, vcc_lo
	v_cmp_ne_u32_e32 vcc_lo, 0, v27
	v_lshrrev_b32_e32 v51, 8, v24
	v_lshrrev_b32_e32 v53, 8, v16
	v_bfe_u32 v56, v10, 20, 11
	v_bfe_u32 v58, v26, 20, 11
	s_wait_alu 0xfffd
	v_cndmask_b32_e64 v27, 0, 1, vcc_lo
	v_cmp_ne_u32_e32 vcc_lo, 0, v29
	v_add_nc_u32_e32 v48, 0xfffffc10, v48
	v_sub_nc_u32_e32 v69, 0x3f1, v52
	v_sub_nc_u32_e32 v70, 0x3f1, v54
	v_med3_i32 v47, v67, 0, 13
	s_wait_alu 0xfffd
	v_cndmask_b32_e64 v29, 0, 1, vcc_lo
	v_cmp_ne_u32_e32 vcc_lo, 0, v31
	v_and_or_b32 v7, 0xffe, v49, v7
	v_med3_i32 v49, v68, 0, 13
	v_or_b32_e32 v67, 0x1000, v11
	v_lshl_or_b32 v68, v46, 12, v11
	s_wait_alu 0xfffd
	v_cndmask_b32_e64 v31, 0, 1, vcc_lo
	v_cmp_ne_u32_e32 vcc_lo, 0, v21
	v_lshrrev_b32_e32 v55, 8, v10
	v_lshrrev_b32_e32 v57, 8, v26
	v_bfe_u32 v60, v28, 20, 11
	v_bfe_u32 v62, v30, 20, 11
	s_wait_alu 0xfffd
	v_cndmask_b32_e64 v21, 0, 1, vcc_lo
	v_cmp_ne_u32_e32 vcc_lo, 0, v11
	v_add_nc_u32_e32 v50, 0xfffffc10, v50
	v_sub_nc_u32_e32 v71, 0x3f1, v56
	v_sub_nc_u32_e32 v72, 0x3f1, v58
	v_and_or_b32 v23, 0xffe, v51, v23
	s_wait_alu 0xfffd
	v_cndmask_b32_e64 v11, 0, 1, vcc_lo
	v_cmp_ne_u32_e32 vcc_lo, 0, v13
	v_med3_i32 v51, v69, 0, 13
	v_and_or_b32 v15, 0xffe, v53, v15
	v_med3_i32 v53, v70, 0, 13
	v_or_b32_e32 v69, 0x1000, v13
	v_lshl_or_b32 v70, v48, 12, v13
	s_wait_alu 0xfffd
	v_cndmask_b32_e64 v13, 0, 1, vcc_lo
	v_cmp_ne_u32_e32 vcc_lo, 0, v7
	v_lshrrev_b32_e32 v59, 8, v28
	v_lshrrev_b32_e32 v61, 8, v30
	v_bfe_u32 v64, v32, 20, 11
	v_add_nc_u32_e32 v52, 0xfffffc10, v52
	v_sub_nc_u32_e32 v73, 0x3f1, v60
	v_sub_nc_u32_e32 v74, 0x3f1, v62
	v_and_or_b32 v9, 0xffe, v55, v9
	v_med3_i32 v55, v71, 0, 13
	v_and_or_b32 v25, 0xffe, v57, v25
	v_med3_i32 v57, v72, 0, 13
	v_or_b32_e32 v71, 0x1000, v7
	v_lshl_or_b32 v72, v50, 12, v7
	s_wait_alu 0xfffd
	v_cndmask_b32_e64 v7, 0, 1, vcc_lo
	v_cmp_ne_u32_e32 vcc_lo, 0, v23
	v_lshrrev_b32_e32 v63, 8, v32
	v_add_nc_u32_e32 v54, 0xfffffc10, v54
	v_sub_nc_u32_e32 v75, 0x3f1, v64
	v_and_or_b32 v27, 0xffe, v59, v27
	v_med3_i32 v59, v73, 0, 13
	v_and_or_b32 v29, 0xffe, v61, v29
	v_med3_i32 v61, v74, 0, 13
	v_or_b32_e32 v73, 0x1000, v23
	v_lshl_or_b32 v74, v52, 12, v23
	s_wait_alu 0xfffd
	v_cndmask_b32_e64 v23, 0, 1, vcc_lo
	v_cmp_ne_u32_e32 vcc_lo, 0, v15
	v_add_nc_u32_e32 v56, 0xfffffc10, v56
	v_and_or_b32 v31, 0xffe, v63, v31
	v_med3_i32 v63, v75, 0, 13
	v_or_b32_e32 v75, 0x1000, v15
	v_lshl_or_b32 v76, v54, 12, v15
	s_wait_alu 0xfffd
	v_cndmask_b32_e64 v15, 0, 1, vcc_lo
	v_cmp_ne_u32_e32 vcc_lo, 0, v9
	v_add_nc_u32_e32 v58, 0xfffffc10, v58
	v_or_b32_e32 v77, 0x1000, v9
	v_lshl_or_b32 v78, v56, 12, v9
	v_add_nc_u32_e32 v60, 0xfffffc10, v60
	s_wait_alu 0xfffd
	v_cndmask_b32_e64 v9, 0, 1, vcc_lo
	v_cmp_ne_u32_e32 vcc_lo, 0, v25
	v_or_b32_e32 v79, 0x1000, v25
	v_lshl_or_b32 v80, v58, 12, v25
	v_lshrrev_b32_e32 v87, v34, v65
	v_add_nc_u32_e32 v62, 0xfffffc10, v62
	s_wait_alu 0xfffd
	v_cndmask_b32_e64 v25, 0, 1, vcc_lo
	v_cmp_ne_u32_e32 vcc_lo, 0, v27
	v_or_b32_e32 v81, 0x1000, v27
	v_lshl_or_b32 v82, v60, 12, v27
	v_lshlrev_b32_e32 v34, v34, v87
	v_or_b32_e32 v83, 0x1000, v29
	s_wait_alu 0xfffd
	v_cndmask_b32_e64 v27, 0, 1, vcc_lo
	v_cmp_ne_u32_e32 vcc_lo, 0, v29
	v_lshl_or_b32 v84, v62, 12, v29
	v_lshrrev_b32_e32 v88, v45, v67
	v_lshrrev_b32_e32 v89, v47, v69
	;; [unrolled: 1-line block ×3, first 2 shown]
	s_wait_alu 0xfffd
	v_cndmask_b32_e64 v29, 0, 1, vcc_lo
	v_cmp_ne_u32_e32 vcc_lo, v34, v65
	v_lshlrev_b32_e32 v45, v45, v88
	v_lshrrev_b32_e32 v91, v51, v73
	v_lshlrev_b32_e32 v49, v49, v90
	v_lshrrev_b32_e32 v92, v53, v75
	s_wait_alu 0xfffd
	v_cndmask_b32_e64 v34, 0, 1, vcc_lo
	v_cmp_ne_u32_e32 vcc_lo, v45, v67
	v_lshlrev_b32_e32 v51, v51, v91
	v_lshrrev_b32_e32 v93, v55, v77
	v_lshlrev_b32_e32 v53, v53, v92
	v_or_b32_e32 v34, v87, v34
	v_lshlrev_b32_e32 v47, v47, v89
	s_wait_alu 0xfffd
	v_cndmask_b32_e64 v45, 0, 1, vcc_lo
	v_lshrrev_b32_e32 v94, v57, v79
	v_lshlrev_b32_e32 v55, v55, v93
	v_lshrrev_b32_e32 v95, v59, v81
	v_cmp_ne_u32_e32 vcc_lo, v47, v69
	v_or_b32_e32 v85, 0x1000, v31
	v_lshlrev_b32_e32 v57, v57, v94
	v_lshrrev_b32_e32 v96, v61, v83
	v_lshlrev_b32_e32 v59, v59, v95
	s_wait_alu 0xfffd
	v_cndmask_b32_e64 v47, 0, 1, vcc_lo
	v_cmp_ne_u32_e32 vcc_lo, v49, v71
	v_lshrrev_b32_e32 v97, v63, v85
	v_lshlrev_b32_e32 v61, v61, v96
	v_or_b32_e32 v45, v88, v45
	v_or_b32_e32 v47, v89, v47
	s_wait_alu 0xfffd
	v_cndmask_b32_e64 v49, 0, 1, vcc_lo
	v_cmp_ne_u32_e32 vcc_lo, v51, v73
	v_lshlrev_b32_e32 v63, v63, v97
	v_lshl_or_b32 v11, v11, 9, 0x7c00
	v_lshl_or_b32 v21, v21, 9, 0x7c00
	v_or_b32_e32 v49, v90, v49
	s_wait_alu 0xfffd
	v_cndmask_b32_e64 v51, 0, 1, vcc_lo
	v_cmp_ne_u32_e32 vcc_lo, v53, v75
	v_lshl_or_b32 v13, v13, 9, 0x7c00
	v_lshrrev_b32_e32 v22, 16, v22
	v_lshl_or_b32 v7, v7, 9, 0x7c00
	v_or_b32_e32 v51, v91, v51
	s_wait_alu 0xfffd
	v_cndmask_b32_e64 v53, 0, 1, vcc_lo
	v_cmp_ne_u32_e32 vcc_lo, v55, v77
	v_lshl_or_b32 v23, v23, 9, 0x7c00
	v_lshl_or_b32 v15, v15, 9, 0x7c00
	v_lshrrev_b32_e32 v12, 16, v12
	v_or_b32_e32 v53, v92, v53
	s_wait_alu 0xfffd
	v_cndmask_b32_e64 v55, 0, 1, vcc_lo
	v_cmp_ne_u32_e32 vcc_lo, v57, v79
	v_lshrrev_b32_e32 v14, 16, v14
	v_lshl_or_b32 v9, v9, 9, 0x7c00
	v_lshrrev_b32_e32 v8, 16, v8
	v_or_b32_e32 v55, v93, v55
	s_wait_alu 0xfffd
	v_cndmask_b32_e64 v57, 0, 1, vcc_lo
	v_cmp_ne_u32_e32 vcc_lo, v59, v81
	v_lshrrev_b32_e32 v24, 16, v24
	v_lshrrev_b32_e32 v10, 16, v10
	v_lshl_or_b32 v25, v25, 9, 0x7c00
	v_or_b32_e32 v57, v94, v57
	s_wait_alu 0xfffd
	v_cndmask_b32_e64 v59, 0, 1, vcc_lo
	v_cmp_ne_u32_e32 vcc_lo, v61, v83
	v_lshrrev_b32_e32 v16, 16, v16
	v_lshrrev_b32_e32 v26, 16, v26
	v_lshl_or_b32 v27, v27, 9, 0x7c00
	v_or_b32_e32 v59, v95, v59
	s_wait_alu 0xfffd
	v_cndmask_b32_e64 v61, 0, 1, vcc_lo
	v_cmp_ne_u32_e32 vcc_lo, v63, v85
	v_lshl_or_b32 v29, v29, 9, 0x7c00
	v_and_or_b32 v0, 0x1ff, v1, v0
	v_lshrrev_b32_e32 v28, 16, v28
	v_or_b32_e32 v61, v96, v61
	s_wait_alu 0xfffd
	v_cndmask_b32_e64 v63, 0, 1, vcc_lo
	v_cmp_gt_i32_e32 vcc_lo, 1, v35
	v_lshrrev_b32_e32 v30, 16, v30
	s_delay_alu instid0(VALU_DEP_3) | instskip(SKIP_3) | instid1(VALU_DEP_2)
	v_or_b32_e32 v63, v97, v63
	s_wait_alu 0xfffd
	v_cndmask_b32_e32 v34, v66, v34, vcc_lo
	v_cmp_gt_i32_e32 vcc_lo, 1, v46
	v_and_b32_e32 v65, 7, v34
	s_wait_alu 0xfffd
	v_cndmask_b32_e32 v45, v68, v45, vcc_lo
	v_cmp_gt_i32_e32 vcc_lo, 1, v48
	v_lshrrev_b32_e32 v34, 2, v34
	v_cmp_eq_u32_e64 s0, 3, v65
	s_wait_alu 0xfffd
	v_dual_cndmask_b32 v47, v70, v47 :: v_dual_and_b32 v66, 7, v45
	v_cmp_gt_i32_e32 vcc_lo, 1, v50
	v_lshrrev_b32_e32 v45, 2, v45
	s_delay_alu instid0(VALU_DEP_3) | instskip(NEXT) | instid1(VALU_DEP_4)
	v_cmp_lt_i32_e64 s1, 5, v66
	v_and_b32_e32 v67, 7, v47
	s_wait_alu 0xfffd
	v_cndmask_b32_e32 v49, v72, v49, vcc_lo
	v_cmp_gt_i32_e32 vcc_lo, 1, v52
	v_cmp_eq_u32_e64 s2, 3, v66
	v_lshrrev_b32_e32 v47, 2, v47
	v_cmp_lt_i32_e64 s3, 5, v67
	s_wait_alu 0xfffd
	v_dual_cndmask_b32 v51, v74, v51 :: v_dual_and_b32 v68, 7, v49
	v_cmp_gt_i32_e32 vcc_lo, 1, v54
	v_cmp_eq_u32_e64 s4, 3, v67
	v_lshrrev_b32_e32 v49, 2, v49
	s_delay_alu instid0(VALU_DEP_4)
	v_cmp_lt_i32_e64 s5, 5, v68
	v_and_b32_e32 v69, 7, v51
	s_wait_alu 0xfffd
	v_cndmask_b32_e32 v53, v76, v53, vcc_lo
	v_cmp_gt_i32_e32 vcc_lo, 1, v56
	v_cmp_eq_u32_e64 s6, 3, v68
	v_lshrrev_b32_e32 v51, 2, v51
	v_cmp_lt_i32_e64 s7, 5, v69
	s_wait_alu 0xfffd
	v_dual_cndmask_b32 v55, v78, v55 :: v_dual_and_b32 v70, 7, v53
	v_cmp_gt_i32_e32 vcc_lo, 1, v58
	v_cmp_eq_u32_e64 s8, 3, v69
	v_lshrrev_b32_e32 v53, 2, v53
	s_delay_alu instid0(VALU_DEP_4)
	;; [unrolled: 14-line block ×3, first 2 shown]
	v_cmp_lt_i32_e64 s13, 5, v72
	v_and_b32_e32 v73, 7, v59
	s_wait_alu 0xfffd
	v_cndmask_b32_e32 v61, v84, v61, vcc_lo
	v_cmp_lt_i32_e32 vcc_lo, 5, v65
	v_cmp_eq_u32_e64 s14, 3, v72
	v_lshrrev_b32_e32 v59, 2, v59
	v_cmp_lt_i32_e64 s15, 5, v73
	v_and_b32_e32 v74, 7, v61
	s_or_b32 vcc_lo, s0, vcc_lo
	v_cmp_eq_u32_e64 s16, 3, v73
	s_wait_alu 0xfffe
	v_add_co_ci_u32_e32 v34, vcc_lo, 0, v34, vcc_lo
	s_or_b32 vcc_lo, s2, s1
	v_cmp_lt_i32_e64 s17, 5, v74
	s_wait_alu 0xfffe
	v_add_co_ci_u32_e32 v45, vcc_lo, 0, v45, vcc_lo
	s_or_b32 vcc_lo, s4, s3
	v_cmp_eq_u32_e64 s18, 3, v74
	s_wait_alu 0xfffe
	v_add_co_ci_u32_e32 v47, vcc_lo, 0, v47, vcc_lo
	s_or_b32 vcc_lo, s6, s5
	v_lshrrev_b32_e32 v61, 2, v61
	s_wait_alu 0xfffe
	v_add_co_ci_u32_e32 v49, vcc_lo, 0, v49, vcc_lo
	s_or_b32 vcc_lo, s8, s7
	s_wait_alu 0xfffe
	v_add_co_ci_u32_e32 v51, vcc_lo, 0, v51, vcc_lo
	s_or_b32 vcc_lo, s10, s9
	;; [unrolled: 3-line block ×6, first 2 shown]
	s_wait_alu 0xfffe
	v_add_co_ci_u32_e32 v61, vcc_lo, 0, v61, vcc_lo
	v_cmp_gt_i32_e32 vcc_lo, 31, v35
	s_wait_alu 0xfffd
	v_cndmask_b32_e32 v34, 0x7c00, v34, vcc_lo
	v_cmp_gt_i32_e32 vcc_lo, 31, v46
	s_wait_alu 0xfffd
	v_cndmask_b32_e32 v45, 0x7c00, v45, vcc_lo
	;; [unrolled: 3-line block ×10, first 2 shown]
	v_cmp_eq_u32_e32 vcc_lo, 0x40f, v35
	s_wait_alu 0xfffd
	v_dual_cndmask_b32 v21, v34, v21 :: v_dual_add_nc_u32 v64, 0xfffffc10, v64
	v_cmp_eq_u32_e32 vcc_lo, 0x40f, v46
	s_delay_alu instid0(VALU_DEP_2) | instskip(NEXT) | instid1(VALU_DEP_3)
	v_lshl_or_b32 v86, v64, 12, v31
	v_and_or_b32 v21, 0x8000, v22, v21
	s_wait_alu 0xfffd
	v_cndmask_b32_e32 v11, v45, v11, vcc_lo
	v_cmp_eq_u32_e32 vcc_lo, 0x40f, v48
	s_delay_alu instid0(VALU_DEP_2) | instskip(SKIP_3) | instid1(VALU_DEP_2)
	v_and_or_b32 v11, 0x8000, v12, v11
	s_wait_alu 0xfffd
	v_cndmask_b32_e32 v13, v47, v13, vcc_lo
	v_cmp_eq_u32_e32 vcc_lo, 0x40f, v50
	v_and_or_b32 v12, 0x8000, v14, v13
	s_wait_alu 0xfffd
	v_dual_cndmask_b32 v7, v49, v7 :: v_dual_and_b32 v14, 0xffff, v21
	v_cmp_eq_u32_e32 vcc_lo, 0x40f, v52
	s_delay_alu instid0(VALU_DEP_3) | instskip(NEXT) | instid1(VALU_DEP_3)
	v_and_b32_e32 v12, 0xffff, v12
	v_and_or_b32 v7, 0x8000, v8, v7
	s_delay_alu instid0(VALU_DEP_4)
	v_lshl_or_b32 v11, v11, 16, v14
	s_wait_alu 0xfffd
	v_cndmask_b32_e32 v23, v51, v23, vcc_lo
	v_cmp_eq_u32_e32 vcc_lo, 0x40f, v54
	v_lshl_or_b32 v7, v7, 16, v12
	v_add_nc_u32_e32 v12, 0x200, v36
	s_delay_alu instid0(VALU_DEP_4)
	v_and_or_b32 v8, 0x8000, v24, v23
	s_wait_alu 0xfffd
	v_cndmask_b32_e32 v15, v53, v15, vcc_lo
	v_cmp_eq_u32_e32 vcc_lo, 0x40f, v56
	s_wait_loadcnt 0x3
	v_lshrrev_b32_e32 v23, 16, v3
	v_and_b32_e32 v8, 0xffff, v8
	v_and_or_b32 v13, 0x8000, v16, v15
	s_wait_alu 0xfffd
	v_cndmask_b32_e32 v9, v55, v9, vcc_lo
	v_cmp_eq_u32_e32 vcc_lo, 0x40f, v58
	s_delay_alu instid0(VALU_DEP_3) | instskip(NEXT) | instid1(VALU_DEP_3)
	v_lshl_or_b32 v8, v13, 16, v8
	v_and_or_b32 v9, 0x8000, v10, v9
	s_wait_alu 0xfffd
	v_cndmask_b32_e32 v25, v57, v25, vcc_lo
	v_cmp_eq_u32_e32 vcc_lo, 0x40f, v60
	s_delay_alu instid0(VALU_DEP_3) | instskip(NEXT) | instid1(VALU_DEP_3)
	v_and_b32_e32 v9, 0xffff, v9
	v_and_or_b32 v10, 0x8000, v26, v25
	s_wait_alu 0xfffd
	v_cndmask_b32_e32 v27, v59, v27, vcc_lo
	v_cmp_eq_u32_e32 vcc_lo, 0x40f, v62
	s_delay_alu instid0(VALU_DEP_3)
	v_lshl_or_b32 v9, v10, 16, v9
	s_clause 0x3
	global_store_b32 v[17:18], v11, off
	global_store_b32 v[37:38], v7, off
	;; [unrolled: 1-line block ×4, first 2 shown]
	v_mul_f64_e32 v[7:8], s[24:25], v[41:42]
	v_lshrrev_b32_e32 v9, 8, v1
	s_delay_alu instid0(VALU_DEP_2)
	v_bfe_u32 v26, v8, 20, 11
	s_wait_alu 0xfffd
	v_cndmask_b32_e32 v15, v61, v29, vcc_lo
	v_cmp_gt_i32_e32 vcc_lo, 1, v64
	v_and_or_b32 v7, 0x1ff, v8, v7
	v_lshrrev_b32_e32 v25, 8, v8
	v_lshrrev_b32_e32 v8, 16, v8
	v_and_or_b32 v11, 0x8000, v30, v15
	s_wait_alu 0xfffd
	v_cndmask_b32_e32 v13, v86, v63, vcc_lo
	v_cmp_ne_u32_e32 vcc_lo, 0, v0
	v_bfe_u32 v15, v1, 20, 11
	v_lshrrev_b32_e32 v1, 16, v1
	s_delay_alu instid0(VALU_DEP_4)
	v_and_b32_e32 v16, 7, v13
	v_and_or_b32 v10, 0x8000, v28, v27
	s_wait_alu 0xfffd
	v_cndmask_b32_e64 v0, 0, 1, vcc_lo
	v_lshrrev_b32_e32 v18, 2, v13
	v_add_nc_u32_e32 v24, 0xfffffc10, v15
	v_cmp_lt_i32_e32 vcc_lo, 5, v16
	v_and_b32_e32 v14, 0xffff, v10
	v_and_or_b32 v0, 0xffe, v9, v0
	ds_load_2addr_b32 v[9:10], v12 offset0:103 offset1:136
	v_sub_nc_u32_e32 v12, 0x3f1, v15
	v_cmp_eq_u32_e64 s0, 3, v16
	v_lshl_or_b32 v19, v11, 16, v14
	v_or_b32_e32 v16, 0x1000, v0
	v_mul_f64_e32 v[13:14], s[24:25], v[43:44]
	v_med3_i32 v17, v12, 0, 13
	s_or_b32 vcc_lo, s0, vcc_lo
	v_add_co_u32 v11, s1, v39, s22
	s_wait_alu 0xfffe
	v_add_co_ci_u32_e32 v18, vcc_lo, 0, v18, vcc_lo
	v_lshrrev_b32_e32 v20, v17, v16
	v_cmp_ne_u32_e32 vcc_lo, 0, v31
	s_wait_alu 0xf1ff
	v_add_co_ci_u32_e64 v12, s1, s23, v40, s1
	s_delay_alu instid0(VALU_DEP_3)
	v_lshlrev_b32_e32 v17, v17, v20
	s_wait_alu 0xfffd
	v_cndmask_b32_e64 v21, 0, 1, vcc_lo
	v_cmp_gt_i32_e32 vcc_lo, 31, v64
	s_wait_dscnt 0x0
	v_lshrrev_b32_e32 v22, 16, v9
	global_store_b32 v[11:12], v19, off
	v_lshl_or_b32 v21, v21, 9, 0x7c00
	s_wait_alu 0xfffd
	v_cndmask_b32_e32 v18, 0x7c00, v18, vcc_lo
	v_cmp_ne_u32_e32 vcc_lo, v17, v16
	v_mul_f16_e32 v17, v22, v23
	s_wait_alu 0xfffd
	v_cndmask_b32_e64 v16, 0, 1, vcc_lo
	s_delay_alu instid0(VALU_DEP_2) | instskip(SKIP_2) | instid1(VALU_DEP_4)
	v_fmac_f16_e32 v17, v9, v3
	v_cmp_ne_u32_e32 vcc_lo, 0, v7
	v_mul_f16_e32 v9, v9, v23
	v_or_b32_e32 v15, v20, v16
	v_lshl_or_b32 v16, v24, 12, v0
	s_wait_alu 0xfffd
	v_cndmask_b32_e64 v7, 0, 1, vcc_lo
	v_cvt_f32_f16_e32 v17, v17
	v_cmp_gt_i32_e32 vcc_lo, 1, v24
	global_load_b32 v20, v33, s[20:21] offset:1452
	v_fma_f16 v3, v3, v22, -v9
	v_and_or_b32 v7, 0xffe, v25, v7
	v_and_or_b32 v13, 0x1ff, v14, v13
	s_wait_alu 0xfffd
	v_cndmask_b32_e32 v27, v16, v15, vcc_lo
	v_cvt_f64_f32_e32 v[15:16], v17
	v_sub_nc_u32_e32 v17, 0x3f1, v26
	v_cmp_eq_u32_e32 vcc_lo, 0x40f, v64
	v_or_b32_e32 v28, 0x1000, v7
	v_and_b32_e32 v25, 7, v27
	v_cmp_ne_u32_e64 s1, 0, v13
	v_med3_i32 v17, v17, 0, 13
	s_wait_alu 0xfffd
	v_cndmask_b32_e32 v18, v18, v21, vcc_lo
	v_lshrrev_b32_e32 v21, 16, v32
	v_cmp_lt_i32_e32 vcc_lo, 5, v25
	v_cmp_eq_u32_e64 s0, 3, v25
	s_wait_alu 0xf1ff
	v_cndmask_b32_e64 v13, 0, 1, s1
	v_lshrrev_b32_e32 v25, 8, v14
	v_and_or_b32 v21, 0x8000, v21, v18
	v_lshrrev_b32_e32 v18, v17, v28
	v_bfe_u32 v29, v14, 20, 11
	v_lshrrev_b32_e32 v23, 2, v27
	v_and_or_b32 v13, 0xffe, v25, v13
	s_or_b32 vcc_lo, s0, vcc_lo
	v_lshlrev_b32_e32 v17, v17, v18
	v_sub_nc_u32_e32 v25, 0x3f1, v29
	s_wait_alu 0xfffe
	v_add_co_ci_u32_e32 v23, vcc_lo, 0, v23, vcc_lo
	v_add_nc_u32_e32 v22, 0xfffffc10, v26
	v_cmp_ne_u32_e64 s1, v17, v28
	v_or_b32_e32 v26, 0x1000, v13
	v_med3_i32 v25, v25, 0, 13
	v_cvt_f32_f16_e32 v3, v3
	v_cmp_ne_u32_e32 vcc_lo, 0, v0
	s_wait_alu 0xf1ff
	v_cndmask_b32_e64 v9, 0, 1, s1
	v_lshl_or_b32 v27, v22, 12, v7
	v_and_b32_e32 v21, 0xffff, v21
	s_wait_alu 0xfffd
	v_cndmask_b32_e64 v0, 0, 1, vcc_lo
	v_or_b32_e32 v9, v18, v9
	v_cvt_f64_f32_e32 v[17:18], v3
	v_lshrrev_b32_e32 v3, v25, v26
	v_cmp_gt_i32_e32 vcc_lo, 1, v22
	v_mul_f64_e32 v[15:16], s[24:25], v[15:16]
	v_lshl_or_b32 v0, v0, 9, 0x7c00
	s_delay_alu instid0(VALU_DEP_4) | instskip(SKIP_3) | instid1(VALU_DEP_2)
	v_lshlrev_b32_e32 v25, v25, v3
	s_wait_alu 0xfffd
	v_cndmask_b32_e32 v9, v27, v9, vcc_lo
	v_cmp_gt_i32_e32 vcc_lo, 31, v24
	v_and_b32_e32 v27, 7, v9
	s_wait_alu 0xfffd
	v_cndmask_b32_e32 v23, 0x7c00, v23, vcc_lo
	v_cmp_ne_u32_e32 vcc_lo, v25, v26
	v_add_nc_u32_e32 v26, 0xfffffc10, v29
	v_lshrrev_b32_e32 v9, 2, v9
	v_cmp_eq_u32_e64 s0, 3, v27
	s_wait_alu 0xfffd
	v_cndmask_b32_e64 v25, 0, 1, vcc_lo
	v_cmp_eq_u32_e32 vcc_lo, 0x40f, v24
	v_cmp_gt_i32_e64 s1, 1, v26
	s_delay_alu instid0(VALU_DEP_3)
	v_or_b32_e32 v3, v3, v25
	s_wait_alu 0xfffd
	v_cndmask_b32_e32 v0, v23, v0, vcc_lo
	v_cmp_lt_i32_e32 vcc_lo, 5, v27
	v_lshl_or_b32 v23, v26, 12, v13
	v_lshrrev_b32_e32 v25, 16, v10
	s_wait_loadcnt 0x3
	v_lshrrev_b32_e32 v27, 16, v4
	s_or_b32 vcc_lo, s0, vcc_lo
	v_cndmask_b32_e64 v3, v23, v3, s1
	s_wait_alu 0xfffe
	v_add_co_ci_u32_e32 v9, vcc_lo, 0, v9, vcc_lo
	v_cmp_gt_i32_e32 vcc_lo, 31, v22
	v_and_or_b32 v23, 0x8000, v1, v0
	v_and_b32_e32 v24, 7, v3
	v_mul_f64_e32 v[0:1], s[24:25], v[17:18]
	v_lshrrev_b32_e32 v3, 2, v3
	s_wait_alu 0xfffd
	v_cndmask_b32_e32 v9, 0x7c00, v9, vcc_lo
	v_cmp_ne_u32_e32 vcc_lo, 0, v7
	v_cmp_eq_u32_e64 s0, 3, v24
	v_and_or_b32 v15, 0x1ff, v16, v15
	v_mul_f16_e32 v17, v25, v27
	v_lshrrev_b32_e32 v18, 8, v16
	s_wait_alu 0xfffd
	v_cndmask_b32_e64 v7, 0, 1, vcc_lo
	v_cmp_lt_i32_e32 vcc_lo, 5, v24
	v_bfe_u32 v24, v16, 20, 11
	v_fmac_f16_e32 v17, v10, v4
	v_lshl_or_b32 v19, v23, 16, v21
	v_lshl_or_b32 v7, v7, 9, 0x7c00
	s_or_b32 vcc_lo, s0, vcc_lo
	v_sub_nc_u32_e32 v28, 0x3f1, v24
	s_wait_alu 0xfffe
	v_add_co_ci_u32_e32 v3, vcc_lo, 0, v3, vcc_lo
	v_cmp_ne_u32_e32 vcc_lo, 0, v15
	v_cvt_f32_f16_e32 v17, v17
	v_med3_i32 v28, v28, 0, 13
	v_lshrrev_b32_e32 v16, 16, v16
	s_wait_alu 0xfffd
	v_cndmask_b32_e64 v15, 0, 1, vcc_lo
	v_cmp_ne_u32_e32 vcc_lo, 0, v13
	s_delay_alu instid0(VALU_DEP_2)
	v_and_or_b32 v15, 0xffe, v18, v15
	s_wait_alu 0xfffd
	v_cndmask_b32_e64 v13, 0, 1, vcc_lo
	v_cmp_gt_i32_e32 vcc_lo, 31, v26
	v_cvt_f64_f32_e32 v[17:18], v17
	v_or_b32_e32 v29, 0x1000, v15
	s_delay_alu instid0(VALU_DEP_4)
	v_lshl_or_b32 v13, v13, 9, 0x7c00
	s_wait_alu 0xfffd
	v_cndmask_b32_e32 v3, 0x7c00, v3, vcc_lo
	v_cmp_eq_u32_e32 vcc_lo, 0x40f, v22
	v_and_or_b32 v0, 0x1ff, v1, v0
	v_bfe_u32 v22, v1, 20, 11
	s_wait_alu 0xfffd
	v_cndmask_b32_e32 v7, v9, v7, vcc_lo
	v_lshrrev_b32_e32 v9, v28, v29
	v_cmp_eq_u32_e32 vcc_lo, 0x40f, v26
	s_delay_alu instid0(VALU_DEP_3) | instskip(SKIP_4) | instid1(VALU_DEP_2)
	v_and_or_b32 v21, 0x8000, v8, v7
	s_wait_alu 0xfffd
	v_cndmask_b32_e32 v3, v3, v13, vcc_lo
	v_lshrrev_b32_e32 v13, 16, v14
	v_lshlrev_b32_e32 v14, v28, v9
	v_and_or_b32 v13, 0x8000, v13, v3
	s_delay_alu instid0(VALU_DEP_2)
	v_cmp_ne_u32_e32 vcc_lo, v14, v29
	v_mul_f16_e32 v3, v10, v27
	v_add_nc_u32_e32 v14, 0xfffffc10, v24
	s_wait_alu 0xfffd
	v_cndmask_b32_e64 v7, 0, 1, vcc_lo
	v_cmp_ne_u32_e32 vcc_lo, 0, v0
	v_fma_f16 v3, v4, v25, -v3
	v_lshrrev_b32_e32 v4, 8, v1
	v_lshl_or_b32 v8, v14, 12, v15
	v_or_b32_e32 v7, v9, v7
	s_wait_alu 0xfffd
	v_cndmask_b32_e64 v0, 0, 1, vcc_lo
	v_cvt_f32_f16_e32 v3, v3
	v_sub_nc_u32_e32 v9, 0x3f1, v22
	v_cmp_gt_i32_e32 vcc_lo, 1, v14
	v_add_nc_u32_e32 v22, 0xfffffc10, v22
	v_and_or_b32 v0, 0xffe, v4, v0
	v_cvt_f64_f32_e32 v[3:4], v3
	v_med3_i32 v25, v9, 0, 13
	s_wait_alu 0xfffd
	v_cndmask_b32_e32 v23, v8, v7, vcc_lo
	v_mul_f64_e32 v[9:10], s[24:25], v[17:18]
	v_or_b32_e32 v24, 0x1000, v0
	ds_load_2addr_b32 v[7:8], v2 offset0:41 offset1:74
	v_and_b32_e32 v17, 0xffff, v21
	v_and_b32_e32 v18, 7, v23
	v_add_co_u32 v11, vcc_lo, v11, s22
	v_lshrrev_b32_e32 v21, v25, v24
	s_wait_alu 0xfffd
	v_add_co_ci_u32_e32 v12, vcc_lo, s23, v12, vcc_lo
	v_cmp_lt_i32_e32 vcc_lo, 5, v18
	v_cmp_eq_u32_e64 s0, 3, v18
	v_lshlrev_b32_e32 v25, v25, v21
	v_lshl_or_b32 v17, v13, 16, v17
	v_lshrrev_b32_e32 v13, 2, v23
	s_delay_alu instid0(VALU_DEP_4) | instskip(NEXT) | instid1(VALU_DEP_3)
	s_or_b32 vcc_lo, s0, vcc_lo
	v_cmp_ne_u32_e64 s1, v25, v24
	s_wait_loadcnt 0x2
	v_lshrrev_b32_e32 v24, 16, v5
	s_wait_alu 0xfffe
	v_add_co_ci_u32_e32 v13, vcc_lo, 0, v13, vcc_lo
	v_cmp_ne_u32_e32 vcc_lo, 0, v15
	s_wait_alu 0xf1ff
	v_cndmask_b32_e64 v18, 0, 1, s1
	s_wait_dscnt 0x0
	v_lshrrev_b32_e32 v23, 16, v7
	s_wait_alu 0xfffd
	v_cndmask_b32_e64 v15, 0, 1, vcc_lo
	v_or_b32_e32 v18, v21, v18
	v_lshl_or_b32 v21, v22, 12, v0
	v_cmp_gt_i32_e32 vcc_lo, 1, v22
	v_mul_f16_e32 v25, v23, v24
	v_lshl_or_b32 v15, v15, 9, 0x7c00
	s_wait_alu 0xfffd
	v_cndmask_b32_e32 v18, v21, v18, vcc_lo
	v_cmp_gt_i32_e32 vcc_lo, 31, v14
	v_fmac_f16_e32 v25, v7, v5
	v_mul_f64_e32 v[3:4], s[24:25], v[3:4]
	v_and_or_b32 v9, 0x1ff, v10, v9
	v_and_b32_e32 v21, 7, v18
	s_wait_alu 0xfffd
	v_cndmask_b32_e32 v13, 0x7c00, v13, vcc_lo
	v_cmp_eq_u32_e32 vcc_lo, 0x40f, v14
	v_lshrrev_b32_e32 v18, 2, v18
	v_cmp_ne_u32_e64 s1, 0, v9
	v_cmp_eq_u32_e64 s0, 3, v21
	v_mul_f16_e32 v7, v7, v24
	s_wait_alu 0xfffd
	v_cndmask_b32_e32 v15, v13, v15, vcc_lo
	v_cvt_f32_f16_e32 v13, v25
	v_cmp_lt_i32_e32 vcc_lo, 5, v21
	s_wait_alu 0xf1ff
	v_cndmask_b32_e64 v9, 0, 1, s1
	v_lshrrev_b32_e32 v21, 8, v10
	v_bfe_u32 v25, v10, 20, 11
	v_cvt_f64_f32_e32 v[13:14], v13
	s_or_b32 vcc_lo, s0, vcc_lo
	v_and_or_b32 v15, 0x8000, v16, v15
	s_wait_alu 0xfffe
	v_add_co_ci_u32_e32 v18, vcc_lo, 0, v18, vcc_lo
	v_cmp_ne_u32_e32 vcc_lo, 0, v0
	v_and_or_b32 v9, 0xffe, v21, v9
	v_sub_nc_u32_e32 v21, 0x3f1, v25
	v_and_b32_e32 v27, 0xffff, v15
	v_fma_f16 v5, v5, v23, -v7
	s_wait_alu 0xfffd
	v_cndmask_b32_e64 v0, 0, 1, vcc_lo
	v_cmp_gt_i32_e32 vcc_lo, 31, v22
	v_or_b32_e32 v26, 0x1000, v9
	v_med3_i32 v21, v21, 0, 13
	v_cvt_f32_f16_e32 v5, v5
	v_lshl_or_b32 v0, v0, 9, 0x7c00
	s_wait_alu 0xfffd
	v_cndmask_b32_e32 v18, 0x7c00, v18, vcc_lo
	v_cmp_eq_u32_e32 vcc_lo, 0x40f, v22
	v_lshrrev_b32_e32 v22, v21, v26
	s_wait_alu 0xfffd
	s_delay_alu instid0(VALU_DEP_1)
	v_dual_cndmask_b32 v16, v18, v0 :: v_dual_lshlrev_b32 v21, v21, v22
	v_add_co_u32 v0, vcc_lo, v11, s22
	v_lshrrev_b32_e32 v18, 16, v1
	s_wait_alu 0xfffd
	v_add_co_ci_u32_e32 v1, vcc_lo, s23, v12, vcc_lo
	v_and_or_b32 v3, 0x1ff, v4, v3
	v_cmp_ne_u32_e32 vcc_lo, v21, v26
	v_add_nc_u32_e32 v21, 0xfffffc10, v25
	v_lshrrev_b32_e32 v7, 8, v4
	v_bfe_u32 v23, v4, 20, 11
	v_and_or_b32 v18, 0x8000, v18, v16
	s_wait_alu 0xfffd
	v_cndmask_b32_e64 v15, 0, 1, vcc_lo
	v_cmp_ne_u32_e32 vcc_lo, 0, v3
	v_lshl_or_b32 v24, v21, 12, v9
	v_mul_f64_e32 v[13:14], s[24:25], v[13:14]
	global_store_b32 v[11:12], v19, off
	global_store_b32 v[0:1], v17, off
	v_or_b32_e32 v22, v22, v15
	s_wait_alu 0xfffd
	v_cndmask_b32_e64 v3, 0, 1, vcc_lo
	v_cmp_gt_i32_e32 vcc_lo, 1, v21
	v_cvt_f64_f32_e32 v[15:16], v5
	v_lshl_or_b32 v17, v18, 16, v27
	v_lshrrev_b32_e32 v18, 16, v8
	v_and_or_b32 v3, 0xffe, v7, v3
	v_sub_nc_u32_e32 v7, 0x3f1, v23
	s_wait_alu 0xfffd
	v_cndmask_b32_e32 v5, v24, v22, vcc_lo
	v_add_co_u32 v0, vcc_lo, v0, s22
	v_or_b32_e32 v22, 0x1000, v3
	v_med3_i32 v7, v7, 0, 13
	s_delay_alu instid0(VALU_DEP_4)
	v_and_b32_e32 v11, 7, v5
	s_wait_alu 0xfffd
	v_add_co_ci_u32_e32 v1, vcc_lo, s23, v1, vcc_lo
	s_wait_loadcnt 0x1
	v_lshrrev_b32_e32 v19, 16, v6
	v_lshrrev_b32_e32 v12, v7, v22
	v_cmp_lt_i32_e32 vcc_lo, 5, v11
	v_cmp_eq_u32_e64 s0, 3, v11
	v_lshrrev_b32_e32 v5, 2, v5
	v_mul_f16_e32 v11, v18, v19
	v_lshlrev_b32_e32 v7, v7, v12
	v_mul_f16_e32 v19, v8, v19
	s_or_b32 vcc_lo, s0, vcc_lo
	v_lshrrev_b32_e32 v4, 16, v4
	s_wait_alu 0xfffe
	v_add_co_ci_u32_e32 v5, vcc_lo, 0, v5, vcc_lo
	v_cmp_ne_u32_e64 s1, v7, v22
	v_add_nc_u32_e32 v22, 0xfffffc10, v23
	v_cmp_ne_u32_e32 vcc_lo, 0, v9
	v_fmac_f16_e32 v11, v8, v6
	v_fma_f16 v6, v6, v18, -v19
	s_wait_alu 0xf1ff
	v_cndmask_b32_e64 v7, 0, 1, s1
	v_cmp_eq_u32_e64 s1, 0x40f, v21
	s_wait_alu 0xfffd
	v_cndmask_b32_e64 v9, 0, 1, vcc_lo
	v_and_or_b32 v13, 0x1ff, v14, v13
	v_cmp_gt_i32_e32 vcc_lo, 1, v22
	v_or_b32_e32 v7, v12, v7
	v_lshl_or_b32 v12, v22, 12, v3
	v_cvt_f32_f16_e32 v11, v11
	v_lshrrev_b32_e32 v23, 8, v14
	v_bfe_u32 v24, v14, 20, 11
	v_mul_f64_e32 v[15:16], s[24:25], v[15:16]
	s_wait_alu 0xfffd
	v_cndmask_b32_e32 v7, v12, v7, vcc_lo
	v_cmp_ne_u32_e32 vcc_lo, 0, v13
	v_cvt_f64_f32_e32 v[11:12], v11
	v_lshl_or_b32 v9, v9, 9, 0x7c00
	v_cvt_f32_f16_e32 v6, v6
	v_and_b32_e32 v25, 7, v7
	s_wait_alu 0xfffd
	v_cndmask_b32_e64 v13, 0, 1, vcc_lo
	v_cmp_gt_i32_e32 vcc_lo, 31, v21
	v_lshrrev_b32_e32 v7, 2, v7
	v_cmp_eq_u32_e64 s0, 3, v25
	s_delay_alu instid0(VALU_DEP_4)
	v_and_or_b32 v13, 0xffe, v23, v13
	v_sub_nc_u32_e32 v23, 0x3f1, v24
	s_wait_alu 0xfffd
	v_cndmask_b32_e32 v5, 0x7c00, v5, vcc_lo
	v_cmp_lt_i32_e32 vcc_lo, 5, v25
	v_or_b32_e32 v25, 0x1000, v13
	v_med3_i32 v23, v23, 0, 13
	s_wait_alu 0xf1ff
	v_cndmask_b32_e64 v5, v5, v9, s1
	s_or_b32 vcc_lo, s0, vcc_lo
	v_lshrrev_b32_e32 v9, 16, v10
	s_wait_alu 0xfffe
	v_add_co_ci_u32_e32 v7, vcc_lo, 0, v7, vcc_lo
	v_lshrrev_b32_e32 v10, v23, v25
	v_cmp_ne_u32_e32 vcc_lo, 0, v3
	v_and_or_b32 v9, 0x8000, v9, v5
	s_delay_alu instid0(VALU_DEP_3) | instskip(SKIP_4) | instid1(VALU_DEP_3)
	v_lshlrev_b32_e32 v21, v23, v10
	s_wait_alu 0xfffd
	v_cndmask_b32_e64 v3, 0, 1, vcc_lo
	v_cmp_gt_i32_e32 vcc_lo, 31, v22
	v_and_b32_e32 v9, 0xffff, v9
	v_lshl_or_b32 v3, v3, 9, 0x7c00
	s_wait_alu 0xfffd
	v_cndmask_b32_e32 v5, 0x7c00, v7, vcc_lo
	v_cmp_ne_u32_e32 vcc_lo, v21, v25
	v_add_nc_u32_e32 v21, 0xfffffc10, v24
	s_wait_alu 0xfffd
	v_cndmask_b32_e64 v7, 0, 1, vcc_lo
	v_cmp_eq_u32_e32 vcc_lo, 0x40f, v22
	s_delay_alu instid0(VALU_DEP_3) | instskip(NEXT) | instid1(VALU_DEP_3)
	v_lshl_or_b32 v22, v21, 12, v13
	v_or_b32_e32 v10, v10, v7
	s_wait_alu 0xfffd
	v_cndmask_b32_e32 v5, v5, v3, vcc_lo
	ds_load_2addr_b32 v[2:3], v2 offset0:107 offset1:140
	v_mul_f64_e32 v[7:8], s[24:25], v[11:12]
	v_and_or_b32 v11, 0x1ff, v16, v15
	v_cmp_gt_i32_e32 vcc_lo, 1, v21
	v_lshrrev_b32_e32 v12, 8, v16
	v_bfe_u32 v15, v16, 20, 11
	v_and_or_b32 v18, 0x8000, v4, v5
	v_cvt_f64_f32_e32 v[4:5], v6
	s_wait_alu 0xfffd
	v_cndmask_b32_e32 v10, v22, v10, vcc_lo
	v_cmp_ne_u32_e32 vcc_lo, 0, v11
	v_sub_nc_u32_e32 v6, 0x3f1, v15
	v_lshl_or_b32 v18, v18, 16, v9
	v_add_nc_u32_e32 v15, 0xfffffc10, v15
	v_and_b32_e32 v19, 7, v10
	s_wait_alu 0xfffd
	v_cndmask_b32_e64 v11, 0, 1, vcc_lo
	v_lshrrev_b32_e32 v9, 2, v10
	v_med3_i32 v6, v6, 0, 13
	v_cmp_lt_i32_e32 vcc_lo, 5, v19
	s_delay_alu instid0(VALU_DEP_4)
	v_and_or_b32 v22, 0xffe, v12, v11
	s_wait_dscnt 0x0
	v_lshrrev_b32_e32 v11, 16, v2
	s_wait_loadcnt 0x0
	v_lshrrev_b32_e32 v12, 16, v20
	v_cmp_eq_u32_e64 s0, 3, v19
	v_or_b32_e32 v23, 0x1000, v22
	s_delay_alu instid0(VALU_DEP_3) | instskip(NEXT) | instid1(VALU_DEP_3)
	v_mul_f16_e32 v24, v11, v12
	s_or_b32 vcc_lo, s0, vcc_lo
	s_wait_alu 0xfffe
	v_add_co_ci_u32_e32 v9, vcc_lo, 0, v9, vcc_lo
	v_lshrrev_b32_e32 v10, v6, v23
	v_fmac_f16_e32 v24, v2, v20
	v_cmp_ne_u32_e32 vcc_lo, 0, v13
	v_mul_f16_e32 v2, v2, v12
	s_delay_alu instid0(VALU_DEP_4) | instskip(NEXT) | instid1(VALU_DEP_4)
	v_lshlrev_b32_e32 v19, v6, v10
	v_cvt_f32_f16_e32 v6, v24
	s_wait_alu 0xfffd
	v_cndmask_b32_e64 v13, 0, 1, vcc_lo
	v_cmp_gt_i32_e32 vcc_lo, 31, v21
	v_lshrrev_b32_e32 v12, 8, v8
	v_fma_f16 v2, v20, v11, -v2
	v_lshl_or_b32 v11, v15, 12, v22
	v_lshl_or_b32 v13, v13, 9, 0x7c00
	s_wait_alu 0xfffd
	v_cndmask_b32_e32 v24, 0x7c00, v9, vcc_lo
	v_and_or_b32 v9, 0x1ff, v8, v7
	v_cvt_f64_f32_e32 v[6:7], v6
	v_cmp_ne_u32_e32 vcc_lo, v19, v23
	v_mul_f64_e32 v[4:5], s[24:25], v[4:5]
	v_cvt_f32_f16_e32 v2, v2
	s_wait_alu 0xfffd
	v_cndmask_b32_e64 v19, 0, 1, vcc_lo
	v_cmp_ne_u32_e32 vcc_lo, 0, v9
	s_delay_alu instid0(VALU_DEP_2)
	v_or_b32_e32 v10, v10, v19
	s_wait_alu 0xfffd
	v_cndmask_b32_e64 v9, 0, 1, vcc_lo
	v_bfe_u32 v19, v8, 20, 11
	v_cmp_gt_i32_e32 vcc_lo, 1, v15
	v_lshrrev_b32_e32 v8, 16, v8
	s_delay_alu instid0(VALU_DEP_4) | instskip(NEXT) | instid1(VALU_DEP_4)
	v_and_or_b32 v20, 0xffe, v12, v9
	v_sub_nc_u32_e32 v9, 0x3f1, v19
	s_wait_alu 0xfffd
	v_cndmask_b32_e32 v23, v11, v10, vcc_lo
	v_cmp_eq_u32_e32 vcc_lo, 0x40f, v21
	v_add_nc_u32_e32 v19, 0xfffffc10, v19
	v_or_b32_e32 v25, 0x1000, v20
	v_med3_i32 v26, v9, 0, 13
	v_cvt_f64_f32_e32 v[9:10], v2
	s_wait_alu 0xfffd
	v_cndmask_b32_e32 v2, v24, v13, vcc_lo
	v_lshrrev_b32_e32 v13, 16, v14
	v_and_b32_e32 v14, 7, v23
	v_add_co_u32 v11, vcc_lo, v0, s22
	v_lshrrev_b32_e32 v21, v26, v25
	s_wait_alu 0xfffd
	v_add_co_ci_u32_e32 v12, vcc_lo, s23, v1, vcc_lo
	v_cmp_lt_i32_e32 vcc_lo, 5, v14
	v_cmp_eq_u32_e64 s0, 3, v14
	v_and_or_b32 v2, 0x8000, v13, v2
	v_lshrrev_b32_e32 v13, 2, v23
	v_lshlrev_b32_e32 v24, v26, v21
	v_mul_f64_e32 v[6:7], s[24:25], v[6:7]
	s_or_b32 vcc_lo, s0, vcc_lo
	v_and_or_b32 v4, 0x1ff, v5, v4
	s_wait_alu 0xfffe
	v_add_co_ci_u32_e32 v13, vcc_lo, 0, v13, vcc_lo
	v_cmp_ne_u32_e64 s1, v24, v25
	v_cmp_ne_u32_e32 vcc_lo, 0, v22
	v_and_b32_e32 v2, 0xffff, v2
	s_wait_alu 0xf1ff
	s_delay_alu instid0(VALU_DEP_3) | instskip(SKIP_3) | instid1(VALU_DEP_3)
	v_cndmask_b32_e64 v14, 0, 1, s1
	s_wait_alu 0xfffd
	v_cndmask_b32_e64 v22, 0, 1, vcc_lo
	v_cmp_gt_i32_e32 vcc_lo, 31, v15
	v_or_b32_e32 v14, v21, v14
	v_lshl_or_b32 v21, v19, 12, v20
	s_wait_alu 0xfffd
	v_cndmask_b32_e32 v13, 0x7c00, v13, vcc_lo
	v_cmp_gt_i32_e32 vcc_lo, 1, v19
	v_lshl_or_b32 v22, v22, 9, 0x7c00
	s_wait_alu 0xfffd
	v_cndmask_b32_e32 v14, v21, v14, vcc_lo
	v_cmp_eq_u32_e32 vcc_lo, 0x40f, v15
	v_lshrrev_b32_e32 v15, 16, v16
	v_lshrrev_b32_e32 v21, 8, v5
	v_mul_f64_e32 v[9:10], s[24:25], v[9:10]
	v_and_b32_e32 v16, 7, v14
	s_wait_alu 0xfffd
	v_cndmask_b32_e32 v13, v13, v22, vcc_lo
	v_cmp_ne_u32_e32 vcc_lo, 0, v4
	v_bfe_u32 v22, v5, 20, 11
	v_lshrrev_b32_e32 v5, 16, v5
	v_cmp_eq_u32_e64 s0, 3, v16
	v_and_or_b32 v13, 0x8000, v15, v13
	s_wait_alu 0xfffd
	v_cndmask_b32_e64 v4, 0, 1, vcc_lo
	v_cmp_lt_i32_e32 vcc_lo, 5, v16
	v_sub_nc_u32_e32 v15, 0x3f1, v22
	v_and_or_b32 v6, 0x1ff, v7, v6
	v_lshl_or_b32 v2, v13, 16, v2
	v_lshrrev_b32_e32 v13, 2, v14
	v_and_or_b32 v4, 0xffe, v21, v4
	s_or_b32 vcc_lo, s0, vcc_lo
	v_med3_i32 v15, v15, 0, 13
	v_lshrrev_b32_e32 v21, 8, v7
	s_wait_alu 0xfffe
	v_add_co_ci_u32_e32 v13, vcc_lo, 0, v13, vcc_lo
	v_or_b32_e32 v14, 0x1000, v4
	v_cmp_ne_u32_e32 vcc_lo, 0, v20
	v_bfe_u32 v23, v7, 20, 11
	v_lshrrev_b32_e32 v7, 16, v7
	s_delay_alu instid0(VALU_DEP_4) | instskip(SKIP_3) | instid1(VALU_DEP_3)
	v_lshrrev_b32_e32 v20, v15, v14
	s_wait_alu 0xfffd
	v_cndmask_b32_e64 v16, 0, 1, vcc_lo
	v_cmp_gt_i32_e32 vcc_lo, 31, v19
	v_lshlrev_b32_e32 v15, v15, v20
	s_delay_alu instid0(VALU_DEP_3)
	v_lshl_or_b32 v16, v16, 9, 0x7c00
	s_wait_alu 0xfffd
	v_cndmask_b32_e32 v13, 0x7c00, v13, vcc_lo
	v_cmp_ne_u32_e32 vcc_lo, 0, v6
	s_wait_alu 0xfffd
	v_cndmask_b32_e64 v6, 0, 1, vcc_lo
	v_cmp_ne_u32_e32 vcc_lo, v15, v14
	v_add_nc_u32_e32 v15, 0xfffffc10, v22
	v_and_or_b32 v9, 0x1ff, v10, v9
	v_bfe_u32 v22, v10, 20, 11
	v_and_or_b32 v6, 0xffe, v21, v6
	s_wait_alu 0xfffd
	v_cndmask_b32_e64 v14, 0, 1, vcc_lo
	v_sub_nc_u32_e32 v21, 0x3f1, v23
	v_cmp_eq_u32_e32 vcc_lo, 0x40f, v19
	v_or_b32_e32 v19, 0x1000, v6
	s_delay_alu instid0(VALU_DEP_4) | instskip(NEXT) | instid1(VALU_DEP_4)
	v_or_b32_e32 v14, v20, v14
	v_med3_i32 v20, v21, 0, 13
	s_wait_alu 0xfffd
	v_cndmask_b32_e32 v13, v13, v16, vcc_lo
	v_lshl_or_b32 v16, v15, 12, v4
	v_cmp_gt_i32_e32 vcc_lo, 1, v15
	v_lshrrev_b32_e32 v21, 8, v10
	s_delay_alu instid0(VALU_DEP_4)
	v_and_or_b32 v8, 0x8000, v8, v13
	v_sub_nc_u32_e32 v13, 0x3f1, v22
	s_wait_alu 0xfffd
	v_cndmask_b32_e32 v14, v16, v14, vcc_lo
	v_lshrrev_b32_e32 v16, v20, v19
	v_cmp_ne_u32_e32 vcc_lo, 0, v9
	v_and_b32_e32 v8, 0xffff, v8
	v_med3_i32 v13, v13, 0, 13
	v_and_b32_e32 v24, 7, v14
	v_lshlrev_b32_e32 v20, v20, v16
	s_wait_alu 0xfffd
	v_cndmask_b32_e64 v9, 0, 1, vcc_lo
	v_lshrrev_b32_e32 v14, 2, v14
	v_cmp_lt_i32_e32 vcc_lo, 5, v24
	v_cmp_ne_u32_e64 s0, v20, v19
	s_delay_alu instid0(VALU_DEP_4) | instskip(SKIP_2) | instid1(VALU_DEP_3)
	v_and_or_b32 v9, 0xffe, v21, v9
	v_add_nc_u32_e32 v21, 0xfffffc10, v23
	s_wait_alu 0xf1ff
	v_cndmask_b32_e64 v19, 0, 1, s0
	v_cmp_eq_u32_e64 s0, 3, v24
	v_or_b32_e32 v20, 0x1000, v9
	v_lshl_or_b32 v23, v21, 12, v6
	s_delay_alu instid0(VALU_DEP_4) | instskip(NEXT) | instid1(VALU_DEP_4)
	v_or_b32_e32 v16, v16, v19
	s_or_b32 vcc_lo, s0, vcc_lo
	s_delay_alu instid0(VALU_DEP_3)
	v_lshrrev_b32_e32 v19, v13, v20
	s_wait_alu 0xfffe
	v_add_co_ci_u32_e32 v14, vcc_lo, 0, v14, vcc_lo
	v_cmp_gt_i32_e32 vcc_lo, 1, v21
	s_wait_alu 0xfffd
	v_dual_cndmask_b32 v16, v23, v16 :: v_dual_lshlrev_b32 v13, v13, v19
	v_cmp_ne_u32_e32 vcc_lo, 0, v4
	s_wait_alu 0xfffd
	v_cndmask_b32_e64 v4, 0, 1, vcc_lo
	s_delay_alu instid0(VALU_DEP_3) | instskip(SKIP_2) | instid1(VALU_DEP_4)
	v_cmp_ne_u32_e32 vcc_lo, v13, v20
	v_add_nc_u32_e32 v20, 0xfffffc10, v22
	v_and_b32_e32 v22, 7, v16
	v_lshl_or_b32 v4, v4, 9, 0x7c00
	s_wait_alu 0xfffd
	v_cndmask_b32_e64 v13, 0, 1, vcc_lo
	v_cmp_gt_i32_e32 vcc_lo, 31, v15
	v_cmp_gt_i32_e64 s1, 1, v20
	v_cmp_eq_u32_e64 s0, 3, v22
	s_delay_alu instid0(VALU_DEP_4)
	v_or_b32_e32 v13, v19, v13
	v_lshl_or_b32 v19, v20, 12, v9
	s_wait_alu 0xfffd
	v_cndmask_b32_e32 v14, 0x7c00, v14, vcc_lo
	v_cmp_lt_i32_e32 vcc_lo, 5, v22
	s_wait_alu 0xf1ff
	v_cndmask_b32_e64 v13, v19, v13, s1
	v_cmp_eq_u32_e64 s1, 0x40f, v15
	s_or_b32 vcc_lo, s0, vcc_lo
	s_delay_alu instid0(VALU_DEP_2) | instskip(NEXT) | instid1(VALU_DEP_2)
	v_and_b32_e32 v15, 7, v13
	v_cndmask_b32_e64 v4, v14, v4, s1
	v_lshrrev_b32_e32 v14, 2, v16
	v_lshrrev_b32_e32 v13, 2, v13
	v_cmp_gt_i32_e64 s1, 31, v21
	v_cmp_eq_u32_e64 s0, 3, v15
	s_wait_alu 0xfffe
	v_add_co_ci_u32_e32 v14, vcc_lo, 0, v14, vcc_lo
	v_cmp_ne_u32_e32 vcc_lo, 0, v6
	s_wait_alu 0xf1ff
	s_delay_alu instid0(VALU_DEP_2) | instskip(SKIP_3) | instid1(VALU_DEP_2)
	v_cndmask_b32_e64 v14, 0x7c00, v14, s1
	s_wait_alu 0xfffd
	v_cndmask_b32_e64 v6, 0, 1, vcc_lo
	v_cmp_lt_i32_e32 vcc_lo, 5, v15
	v_lshl_or_b32 v6, v6, 9, 0x7c00
	s_or_b32 vcc_lo, s0, vcc_lo
	s_wait_alu 0xfffe
	v_add_co_ci_u32_e32 v13, vcc_lo, 0, v13, vcc_lo
	v_cmp_ne_u32_e32 vcc_lo, 0, v9
	s_wait_alu 0xfffd
	v_cndmask_b32_e64 v9, 0, 1, vcc_lo
	v_cmp_eq_u32_e32 vcc_lo, 0x40f, v21
	s_delay_alu instid0(VALU_DEP_2) | instskip(SKIP_4) | instid1(VALU_DEP_3)
	v_lshl_or_b32 v9, v9, 9, 0x7c00
	s_wait_alu 0xfffd
	v_cndmask_b32_e32 v6, v14, v6, vcc_lo
	v_cmp_gt_i32_e32 vcc_lo, 31, v20
	v_and_or_b32 v14, 0x8000, v5, v4
	v_and_or_b32 v6, 0x8000, v7, v6
	s_wait_alu 0xfffd
	v_cndmask_b32_e32 v13, 0x7c00, v13, vcc_lo
	v_cmp_eq_u32_e32 vcc_lo, 0x40f, v20
	s_wait_alu 0xfffd
	s_delay_alu instid0(VALU_DEP_2)
	v_cndmask_b32_e32 v7, v13, v9, vcc_lo
	v_lshrrev_b32_e32 v9, 16, v10
	v_add_co_u32 v4, vcc_lo, v11, s22
	s_wait_alu 0xfffd
	v_add_co_ci_u32_e32 v5, vcc_lo, s23, v12, vcc_lo
	v_lshl_or_b32 v10, v14, 16, v8
	v_and_or_b32 v8, 0x8000, v9, v7
	v_and_b32_e32 v9, 0xffff, v6
	v_add_co_u32 v6, vcc_lo, v4, s22
	s_wait_alu 0xfffd
	v_add_co_ci_u32_e32 v7, vcc_lo, s23, v5, vcc_lo
	s_delay_alu instid0(VALU_DEP_3) | instskip(NEXT) | instid1(VALU_DEP_3)
	v_lshl_or_b32 v13, v8, 16, v9
	v_add_co_u32 v8, vcc_lo, v6, s22
	s_wait_alu 0xfffd
	s_delay_alu instid0(VALU_DEP_3)
	v_add_co_ci_u32_e32 v9, vcc_lo, s23, v7, vcc_lo
	global_store_b32 v[0:1], v17, off
	global_store_b32 v[11:12], v18, off
	global_store_b32 v[4:5], v2, off
	global_store_b32 v[6:7], v10, off
	global_store_b32 v[8:9], v13, off
	global_load_b32 v0, v33, s[20:21] offset:1584
	v_lshrrev_b32_e32 v1, 16, v3
	s_wait_loadcnt 0x0
	v_lshrrev_b32_e32 v2, 16, v0
	s_delay_alu instid0(VALU_DEP_1) | instskip(SKIP_1) | instid1(VALU_DEP_2)
	v_mul_f16_e32 v4, v1, v2
	v_mul_f16_e32 v2, v3, v2
	v_fmac_f16_e32 v4, v3, v0
	s_delay_alu instid0(VALU_DEP_2) | instskip(NEXT) | instid1(VALU_DEP_2)
	v_fma_f16 v0, v0, v1, -v2
	v_cvt_f32_f16_e32 v1, v4
	s_delay_alu instid0(VALU_DEP_2) | instskip(NEXT) | instid1(VALU_DEP_2)
	v_cvt_f32_f16_e32 v2, v0
	v_cvt_f64_f32_e32 v[0:1], v1
	s_delay_alu instid0(VALU_DEP_2) | instskip(NEXT) | instid1(VALU_DEP_2)
	v_cvt_f64_f32_e32 v[2:3], v2
	v_mul_f64_e32 v[0:1], s[24:25], v[0:1]
	s_delay_alu instid0(VALU_DEP_2) | instskip(NEXT) | instid1(VALU_DEP_2)
	v_mul_f64_e32 v[2:3], s[24:25], v[2:3]
	v_and_or_b32 v0, 0x1ff, v1, v0
	s_delay_alu instid0(VALU_DEP_2)
	v_and_or_b32 v2, 0x1ff, v3, v2
	v_lshrrev_b32_e32 v4, 8, v1
	v_bfe_u32 v5, v1, 20, 11
	v_lshrrev_b32_e32 v6, 8, v3
	v_cmp_ne_u32_e32 vcc_lo, 0, v0
	v_bfe_u32 v7, v3, 20, 11
	v_lshrrev_b32_e32 v1, 16, v1
	v_lshrrev_b32_e32 v3, 16, v3
	s_wait_alu 0xfffd
	v_cndmask_b32_e64 v0, 0, 1, vcc_lo
	v_cmp_ne_u32_e32 vcc_lo, 0, v2
	s_delay_alu instid0(VALU_DEP_2)
	v_and_or_b32 v0, 0xffe, v4, v0
	s_wait_alu 0xfffd
	v_cndmask_b32_e64 v2, 0, 1, vcc_lo
	v_sub_nc_u32_e32 v4, 0x3f1, v5
	v_add_nc_u32_e32 v5, 0xfffffc10, v5
	v_or_b32_e32 v10, 0x1000, v0
	s_delay_alu instid0(VALU_DEP_4) | instskip(SKIP_3) | instid1(VALU_DEP_4)
	v_and_or_b32 v2, 0xffe, v6, v2
	v_sub_nc_u32_e32 v6, 0x3f1, v7
	v_med3_i32 v4, v4, 0, 13
	v_add_nc_u32_e32 v7, 0xfffffc10, v7
	v_or_b32_e32 v11, 0x1000, v2
	s_delay_alu instid0(VALU_DEP_4) | instskip(NEXT) | instid1(VALU_DEP_4)
	v_med3_i32 v6, v6, 0, 13
	v_lshrrev_b32_e32 v12, v4, v10
	s_delay_alu instid0(VALU_DEP_2) | instskip(NEXT) | instid1(VALU_DEP_2)
	v_lshrrev_b32_e32 v13, v6, v11
	v_lshlrev_b32_e32 v4, v4, v12
	s_delay_alu instid0(VALU_DEP_2) | instskip(NEXT) | instid1(VALU_DEP_2)
	v_lshlrev_b32_e32 v6, v6, v13
	v_cmp_ne_u32_e32 vcc_lo, v4, v10
	v_lshl_or_b32 v10, v5, 12, v0
	s_wait_alu 0xfffd
	v_cndmask_b32_e64 v4, 0, 1, vcc_lo
	v_cmp_ne_u32_e32 vcc_lo, v6, v11
	v_lshl_or_b32 v11, v7, 12, v2
	s_delay_alu instid0(VALU_DEP_3) | instskip(SKIP_3) | instid1(VALU_DEP_2)
	v_or_b32_e32 v4, v12, v4
	s_wait_alu 0xfffd
	v_cndmask_b32_e64 v6, 0, 1, vcc_lo
	v_cmp_gt_i32_e32 vcc_lo, 1, v5
	v_or_b32_e32 v6, v13, v6
	s_wait_alu 0xfffd
	v_cndmask_b32_e32 v4, v10, v4, vcc_lo
	v_cmp_gt_i32_e32 vcc_lo, 1, v7
	s_delay_alu instid0(VALU_DEP_2) | instskip(SKIP_3) | instid1(VALU_DEP_3)
	v_and_b32_e32 v10, 7, v4
	s_wait_alu 0xfffd
	v_cndmask_b32_e32 v6, v11, v6, vcc_lo
	v_lshrrev_b32_e32 v4, 2, v4
	v_cmp_lt_i32_e32 vcc_lo, 5, v10
	v_cmp_eq_u32_e64 s0, 3, v10
	s_delay_alu instid0(VALU_DEP_4) | instskip(SKIP_1) | instid1(VALU_DEP_3)
	v_and_b32_e32 v11, 7, v6
	v_lshrrev_b32_e32 v6, 2, v6
	s_or_b32 vcc_lo, s0, vcc_lo
	s_delay_alu instid0(VALU_DEP_2)
	v_cmp_lt_i32_e64 s1, 5, v11
	s_wait_alu 0xfffe
	v_add_co_ci_u32_e32 v4, vcc_lo, 0, v4, vcc_lo
	v_cmp_eq_u32_e64 s2, 3, v11
	v_cmp_ne_u32_e32 vcc_lo, 0, v0
	s_wait_alu 0xfffd
	v_cndmask_b32_e64 v0, 0, 1, vcc_lo
	s_delay_alu instid0(VALU_DEP_3)
	s_or_b32 vcc_lo, s2, s1
	s_wait_alu 0xfffe
	v_add_co_ci_u32_e32 v6, vcc_lo, 0, v6, vcc_lo
	v_cmp_ne_u32_e32 vcc_lo, 0, v2
	v_lshl_or_b32 v0, v0, 9, 0x7c00
	s_wait_alu 0xfffd
	v_cndmask_b32_e64 v2, 0, 1, vcc_lo
	v_cmp_gt_i32_e32 vcc_lo, 31, v5
	s_delay_alu instid0(VALU_DEP_2)
	v_lshl_or_b32 v2, v2, 9, 0x7c00
	s_wait_alu 0xfffd
	v_cndmask_b32_e32 v4, 0x7c00, v4, vcc_lo
	v_cmp_gt_i32_e32 vcc_lo, 31, v7
	s_wait_alu 0xfffd
	v_cndmask_b32_e32 v6, 0x7c00, v6, vcc_lo
	v_cmp_eq_u32_e32 vcc_lo, 0x40f, v5
	s_wait_alu 0xfffd
	v_cndmask_b32_e32 v0, v4, v0, vcc_lo
	v_cmp_eq_u32_e32 vcc_lo, 0x40f, v7
	s_delay_alu instid0(VALU_DEP_2) | instskip(SKIP_2) | instid1(VALU_DEP_2)
	v_and_or_b32 v0, 0x8000, v1, v0
	s_wait_alu 0xfffd
	v_cndmask_b32_e32 v2, v6, v2, vcc_lo
	v_and_b32_e32 v0, 0xffff, v0
	s_delay_alu instid0(VALU_DEP_2) | instskip(NEXT) | instid1(VALU_DEP_1)
	v_and_or_b32 v1, 0x8000, v3, v2
	v_lshl_or_b32 v2, v1, 16, v0
	v_add_co_u32 v0, vcc_lo, v8, s22
	s_wait_alu 0xfffd
	v_add_co_ci_u32_e32 v1, vcc_lo, s23, v9, vcc_lo
	global_store_b32 v[0:1], v2, off
.LBB0_23:
	s_nop 0
	s_sendmsg sendmsg(MSG_DEALLOC_VGPRS)
	s_endpgm
	.section	.rodata,"a",@progbits
	.p2align	6, 0x0
	.amdhsa_kernel bluestein_single_fwd_len429_dim1_half_op_CI_CI
		.amdhsa_group_segment_fixed_size 5148
		.amdhsa_private_segment_fixed_size 0
		.amdhsa_kernarg_size 104
		.amdhsa_user_sgpr_count 2
		.amdhsa_user_sgpr_dispatch_ptr 0
		.amdhsa_user_sgpr_queue_ptr 0
		.amdhsa_user_sgpr_kernarg_segment_ptr 1
		.amdhsa_user_sgpr_dispatch_id 0
		.amdhsa_user_sgpr_private_segment_size 0
		.amdhsa_wavefront_size32 1
		.amdhsa_uses_dynamic_stack 0
		.amdhsa_enable_private_segment 0
		.amdhsa_system_sgpr_workgroup_id_x 1
		.amdhsa_system_sgpr_workgroup_id_y 0
		.amdhsa_system_sgpr_workgroup_id_z 0
		.amdhsa_system_sgpr_workgroup_info 0
		.amdhsa_system_vgpr_workitem_id 0
		.amdhsa_next_free_vgpr 204
		.amdhsa_next_free_sgpr 26
		.amdhsa_reserve_vcc 1
		.amdhsa_float_round_mode_32 0
		.amdhsa_float_round_mode_16_64 0
		.amdhsa_float_denorm_mode_32 3
		.amdhsa_float_denorm_mode_16_64 3
		.amdhsa_fp16_overflow 0
		.amdhsa_workgroup_processor_mode 1
		.amdhsa_memory_ordered 1
		.amdhsa_forward_progress 0
		.amdhsa_round_robin_scheduling 0
		.amdhsa_exception_fp_ieee_invalid_op 0
		.amdhsa_exception_fp_denorm_src 0
		.amdhsa_exception_fp_ieee_div_zero 0
		.amdhsa_exception_fp_ieee_overflow 0
		.amdhsa_exception_fp_ieee_underflow 0
		.amdhsa_exception_fp_ieee_inexact 0
		.amdhsa_exception_int_div_zero 0
	.end_amdhsa_kernel
	.text
.Lfunc_end0:
	.size	bluestein_single_fwd_len429_dim1_half_op_CI_CI, .Lfunc_end0-bluestein_single_fwd_len429_dim1_half_op_CI_CI
                                        ; -- End function
	.section	.AMDGPU.csdata,"",@progbits
; Kernel info:
; codeLenInByte = 25480
; NumSgprs: 28
; NumVgprs: 204
; ScratchSize: 0
; MemoryBound: 0
; FloatMode: 240
; IeeeMode: 1
; LDSByteSize: 5148 bytes/workgroup (compile time only)
; SGPRBlocks: 3
; VGPRBlocks: 25
; NumSGPRsForWavesPerEU: 28
; NumVGPRsForWavesPerEU: 204
; Occupancy: 7
; WaveLimiterHint : 1
; COMPUTE_PGM_RSRC2:SCRATCH_EN: 0
; COMPUTE_PGM_RSRC2:USER_SGPR: 2
; COMPUTE_PGM_RSRC2:TRAP_HANDLER: 0
; COMPUTE_PGM_RSRC2:TGID_X_EN: 1
; COMPUTE_PGM_RSRC2:TGID_Y_EN: 0
; COMPUTE_PGM_RSRC2:TGID_Z_EN: 0
; COMPUTE_PGM_RSRC2:TIDIG_COMP_CNT: 0
	.text
	.p2alignl 7, 3214868480
	.fill 96, 4, 3214868480
	.type	__hip_cuid_849ec379375f9e4f,@object ; @__hip_cuid_849ec379375f9e4f
	.section	.bss,"aw",@nobits
	.globl	__hip_cuid_849ec379375f9e4f
__hip_cuid_849ec379375f9e4f:
	.byte	0                               ; 0x0
	.size	__hip_cuid_849ec379375f9e4f, 1

	.ident	"AMD clang version 19.0.0git (https://github.com/RadeonOpenCompute/llvm-project roc-6.4.0 25133 c7fe45cf4b819c5991fe208aaa96edf142730f1d)"
	.section	".note.GNU-stack","",@progbits
	.addrsig
	.addrsig_sym __hip_cuid_849ec379375f9e4f
	.amdgpu_metadata
---
amdhsa.kernels:
  - .args:
      - .actual_access:  read_only
        .address_space:  global
        .offset:         0
        .size:           8
        .value_kind:     global_buffer
      - .actual_access:  read_only
        .address_space:  global
        .offset:         8
        .size:           8
        .value_kind:     global_buffer
      - .actual_access:  read_only
        .address_space:  global
        .offset:         16
        .size:           8
        .value_kind:     global_buffer
      - .actual_access:  read_only
        .address_space:  global
        .offset:         24
        .size:           8
        .value_kind:     global_buffer
      - .actual_access:  read_only
        .address_space:  global
        .offset:         32
        .size:           8
        .value_kind:     global_buffer
      - .offset:         40
        .size:           8
        .value_kind:     by_value
      - .address_space:  global
        .offset:         48
        .size:           8
        .value_kind:     global_buffer
      - .address_space:  global
        .offset:         56
        .size:           8
        .value_kind:     global_buffer
      - .address_space:  global
        .offset:         64
        .size:           8
        .value_kind:     global_buffer
      - .address_space:  global
        .offset:         72
        .size:           8
        .value_kind:     global_buffer
      - .offset:         80
        .size:           4
        .value_kind:     by_value
      - .address_space:  global
        .offset:         88
        .size:           8
        .value_kind:     global_buffer
      - .address_space:  global
        .offset:         96
        .size:           8
        .value_kind:     global_buffer
    .group_segment_fixed_size: 5148
    .kernarg_segment_align: 8
    .kernarg_segment_size: 104
    .language:       OpenCL C
    .language_version:
      - 2
      - 0
    .max_flat_workgroup_size: 117
    .name:           bluestein_single_fwd_len429_dim1_half_op_CI_CI
    .private_segment_fixed_size: 0
    .sgpr_count:     28
    .sgpr_spill_count: 0
    .symbol:         bluestein_single_fwd_len429_dim1_half_op_CI_CI.kd
    .uniform_work_group_size: 1
    .uses_dynamic_stack: false
    .vgpr_count:     204
    .vgpr_spill_count: 0
    .wavefront_size: 32
    .workgroup_processor_mode: 1
amdhsa.target:   amdgcn-amd-amdhsa--gfx1201
amdhsa.version:
  - 1
  - 2
...

	.end_amdgpu_metadata
